;; amdgpu-corpus repo=ROCm/rocFFT kind=compiled arch=gfx1030 opt=O3
	.text
	.amdgcn_target "amdgcn-amd-amdhsa--gfx1030"
	.amdhsa_code_object_version 6
	.protected	fft_rtc_fwd_len825_factors_11_5_5_3_wgs_55_tpt_55_dp_ip_CI_unitstride_sbrr_dirReg ; -- Begin function fft_rtc_fwd_len825_factors_11_5_5_3_wgs_55_tpt_55_dp_ip_CI_unitstride_sbrr_dirReg
	.globl	fft_rtc_fwd_len825_factors_11_5_5_3_wgs_55_tpt_55_dp_ip_CI_unitstride_sbrr_dirReg
	.p2align	8
	.type	fft_rtc_fwd_len825_factors_11_5_5_3_wgs_55_tpt_55_dp_ip_CI_unitstride_sbrr_dirReg,@function
fft_rtc_fwd_len825_factors_11_5_5_3_wgs_55_tpt_55_dp_ip_CI_unitstride_sbrr_dirReg: ; @fft_rtc_fwd_len825_factors_11_5_5_3_wgs_55_tpt_55_dp_ip_CI_unitstride_sbrr_dirReg
; %bb.0:
	s_clause 0x2
	s_load_dwordx4 s[8:11], s[4:5], 0x0
	s_load_dwordx2 s[2:3], s[4:5], 0x50
	s_load_dwordx2 s[12:13], s[4:5], 0x18
	v_mul_u32_u24_e32 v1, 0x4a8, v0
	v_mov_b32_e32 v3, 0
	v_add_nc_u32_sdwa v5, s6, v1 dst_sel:DWORD dst_unused:UNUSED_PAD src0_sel:DWORD src1_sel:WORD_1
	v_mov_b32_e32 v1, 0
	v_mov_b32_e32 v6, v3
	v_mov_b32_e32 v2, 0
	s_waitcnt lgkmcnt(0)
	v_cmp_lt_u64_e64 s0, s[10:11], 2
	s_and_b32 vcc_lo, exec_lo, s0
	s_cbranch_vccnz .LBB0_8
; %bb.1:
	s_load_dwordx2 s[0:1], s[4:5], 0x10
	v_mov_b32_e32 v1, 0
	s_add_u32 s6, s12, 8
	v_mov_b32_e32 v2, 0
	s_addc_u32 s7, s13, 0
	s_mov_b64 s[16:17], 1
	s_waitcnt lgkmcnt(0)
	s_add_u32 s14, s0, 8
	s_addc_u32 s15, s1, 0
.LBB0_2:                                ; =>This Inner Loop Header: Depth=1
	s_load_dwordx2 s[18:19], s[14:15], 0x0
                                        ; implicit-def: $vgpr7_vgpr8
	s_mov_b32 s0, exec_lo
	s_waitcnt lgkmcnt(0)
	v_or_b32_e32 v4, s19, v6
	v_cmpx_ne_u64_e32 0, v[3:4]
	s_xor_b32 s1, exec_lo, s0
	s_cbranch_execz .LBB0_4
; %bb.3:                                ;   in Loop: Header=BB0_2 Depth=1
	v_cvt_f32_u32_e32 v4, s18
	v_cvt_f32_u32_e32 v7, s19
	s_sub_u32 s0, 0, s18
	s_subb_u32 s20, 0, s19
	v_fmac_f32_e32 v4, 0x4f800000, v7
	v_rcp_f32_e32 v4, v4
	v_mul_f32_e32 v4, 0x5f7ffffc, v4
	v_mul_f32_e32 v7, 0x2f800000, v4
	v_trunc_f32_e32 v7, v7
	v_fmac_f32_e32 v4, 0xcf800000, v7
	v_cvt_u32_f32_e32 v7, v7
	v_cvt_u32_f32_e32 v4, v4
	v_mul_lo_u32 v8, s0, v7
	v_mul_hi_u32 v9, s0, v4
	v_mul_lo_u32 v10, s20, v4
	v_add_nc_u32_e32 v8, v9, v8
	v_mul_lo_u32 v9, s0, v4
	v_add_nc_u32_e32 v8, v8, v10
	v_mul_hi_u32 v10, v4, v9
	v_mul_lo_u32 v11, v4, v8
	v_mul_hi_u32 v12, v4, v8
	v_mul_hi_u32 v13, v7, v9
	v_mul_lo_u32 v9, v7, v9
	v_mul_hi_u32 v14, v7, v8
	v_mul_lo_u32 v8, v7, v8
	v_add_co_u32 v10, vcc_lo, v10, v11
	v_add_co_ci_u32_e32 v11, vcc_lo, 0, v12, vcc_lo
	v_add_co_u32 v9, vcc_lo, v10, v9
	v_add_co_ci_u32_e32 v9, vcc_lo, v11, v13, vcc_lo
	v_add_co_ci_u32_e32 v10, vcc_lo, 0, v14, vcc_lo
	v_add_co_u32 v8, vcc_lo, v9, v8
	v_add_co_ci_u32_e32 v9, vcc_lo, 0, v10, vcc_lo
	v_add_co_u32 v4, vcc_lo, v4, v8
	v_add_co_ci_u32_e32 v7, vcc_lo, v7, v9, vcc_lo
	v_mul_hi_u32 v8, s0, v4
	v_mul_lo_u32 v10, s20, v4
	v_mul_lo_u32 v9, s0, v7
	v_add_nc_u32_e32 v8, v8, v9
	v_mul_lo_u32 v9, s0, v4
	v_add_nc_u32_e32 v8, v8, v10
	v_mul_hi_u32 v10, v4, v9
	v_mul_lo_u32 v11, v4, v8
	v_mul_hi_u32 v12, v4, v8
	v_mul_hi_u32 v13, v7, v9
	v_mul_lo_u32 v9, v7, v9
	v_mul_hi_u32 v14, v7, v8
	v_mul_lo_u32 v8, v7, v8
	v_add_co_u32 v10, vcc_lo, v10, v11
	v_add_co_ci_u32_e32 v11, vcc_lo, 0, v12, vcc_lo
	v_add_co_u32 v9, vcc_lo, v10, v9
	v_add_co_ci_u32_e32 v9, vcc_lo, v11, v13, vcc_lo
	v_add_co_ci_u32_e32 v10, vcc_lo, 0, v14, vcc_lo
	v_add_co_u32 v8, vcc_lo, v9, v8
	v_add_co_ci_u32_e32 v9, vcc_lo, 0, v10, vcc_lo
	v_add_co_u32 v4, vcc_lo, v4, v8
	v_add_co_ci_u32_e32 v11, vcc_lo, v7, v9, vcc_lo
	v_mul_hi_u32 v13, v5, v4
	v_mad_u64_u32 v[9:10], null, v6, v4, 0
	v_mad_u64_u32 v[7:8], null, v5, v11, 0
	;; [unrolled: 1-line block ×3, first 2 shown]
	v_add_co_u32 v4, vcc_lo, v13, v7
	v_add_co_ci_u32_e32 v7, vcc_lo, 0, v8, vcc_lo
	v_add_co_u32 v4, vcc_lo, v4, v9
	v_add_co_ci_u32_e32 v4, vcc_lo, v7, v10, vcc_lo
	v_add_co_ci_u32_e32 v7, vcc_lo, 0, v12, vcc_lo
	v_add_co_u32 v4, vcc_lo, v4, v11
	v_add_co_ci_u32_e32 v9, vcc_lo, 0, v7, vcc_lo
	v_mul_lo_u32 v10, s19, v4
	v_mad_u64_u32 v[7:8], null, s18, v4, 0
	v_mul_lo_u32 v11, s18, v9
	v_sub_co_u32 v7, vcc_lo, v5, v7
	v_add3_u32 v8, v8, v11, v10
	v_sub_nc_u32_e32 v10, v6, v8
	v_subrev_co_ci_u32_e64 v10, s0, s19, v10, vcc_lo
	v_add_co_u32 v11, s0, v4, 2
	v_add_co_ci_u32_e64 v12, s0, 0, v9, s0
	v_sub_co_u32 v13, s0, v7, s18
	v_sub_co_ci_u32_e32 v8, vcc_lo, v6, v8, vcc_lo
	v_subrev_co_ci_u32_e64 v10, s0, 0, v10, s0
	v_cmp_le_u32_e32 vcc_lo, s18, v13
	v_cmp_eq_u32_e64 s0, s19, v8
	v_cndmask_b32_e64 v13, 0, -1, vcc_lo
	v_cmp_le_u32_e32 vcc_lo, s19, v10
	v_cndmask_b32_e64 v14, 0, -1, vcc_lo
	v_cmp_le_u32_e32 vcc_lo, s18, v7
	;; [unrolled: 2-line block ×3, first 2 shown]
	v_cndmask_b32_e64 v15, 0, -1, vcc_lo
	v_cmp_eq_u32_e32 vcc_lo, s19, v10
	v_cndmask_b32_e64 v7, v15, v7, s0
	v_cndmask_b32_e32 v10, v14, v13, vcc_lo
	v_add_co_u32 v13, vcc_lo, v4, 1
	v_add_co_ci_u32_e32 v14, vcc_lo, 0, v9, vcc_lo
	v_cmp_ne_u32_e32 vcc_lo, 0, v10
	v_cndmask_b32_e32 v8, v14, v12, vcc_lo
	v_cndmask_b32_e32 v10, v13, v11, vcc_lo
	v_cmp_ne_u32_e32 vcc_lo, 0, v7
	v_cndmask_b32_e32 v8, v9, v8, vcc_lo
	v_cndmask_b32_e32 v7, v4, v10, vcc_lo
.LBB0_4:                                ;   in Loop: Header=BB0_2 Depth=1
	s_andn2_saveexec_b32 s0, s1
	s_cbranch_execz .LBB0_6
; %bb.5:                                ;   in Loop: Header=BB0_2 Depth=1
	v_cvt_f32_u32_e32 v4, s18
	s_sub_i32 s1, 0, s18
	v_rcp_iflag_f32_e32 v4, v4
	v_mul_f32_e32 v4, 0x4f7ffffe, v4
	v_cvt_u32_f32_e32 v4, v4
	v_mul_lo_u32 v7, s1, v4
	v_mul_hi_u32 v7, v4, v7
	v_add_nc_u32_e32 v4, v4, v7
	v_mul_hi_u32 v4, v5, v4
	v_mul_lo_u32 v7, v4, s18
	v_add_nc_u32_e32 v8, 1, v4
	v_sub_nc_u32_e32 v7, v5, v7
	v_subrev_nc_u32_e32 v9, s18, v7
	v_cmp_le_u32_e32 vcc_lo, s18, v7
	v_cndmask_b32_e32 v7, v7, v9, vcc_lo
	v_cndmask_b32_e32 v4, v4, v8, vcc_lo
	v_cmp_le_u32_e32 vcc_lo, s18, v7
	v_add_nc_u32_e32 v8, 1, v4
	v_cndmask_b32_e32 v7, v4, v8, vcc_lo
	v_mov_b32_e32 v8, v3
.LBB0_6:                                ;   in Loop: Header=BB0_2 Depth=1
	s_or_b32 exec_lo, exec_lo, s0
	s_load_dwordx2 s[0:1], s[6:7], 0x0
	v_mul_lo_u32 v4, v8, s18
	v_mul_lo_u32 v11, v7, s19
	v_mad_u64_u32 v[9:10], null, v7, s18, 0
	s_add_u32 s16, s16, 1
	s_addc_u32 s17, s17, 0
	s_add_u32 s6, s6, 8
	s_addc_u32 s7, s7, 0
	;; [unrolled: 2-line block ×3, first 2 shown]
	v_add3_u32 v4, v10, v11, v4
	v_sub_co_u32 v5, vcc_lo, v5, v9
	v_sub_co_ci_u32_e32 v4, vcc_lo, v6, v4, vcc_lo
	s_waitcnt lgkmcnt(0)
	v_mul_lo_u32 v6, s1, v5
	v_mul_lo_u32 v4, s0, v4
	v_mad_u64_u32 v[1:2], null, s0, v5, v[1:2]
	v_cmp_ge_u64_e64 s0, s[16:17], s[10:11]
	s_and_b32 vcc_lo, exec_lo, s0
	v_add3_u32 v2, v6, v2, v4
	s_cbranch_vccnz .LBB0_9
; %bb.7:                                ;   in Loop: Header=BB0_2 Depth=1
	v_mov_b32_e32 v5, v7
	v_mov_b32_e32 v6, v8
	s_branch .LBB0_2
.LBB0_8:
	v_mov_b32_e32 v8, v6
	v_mov_b32_e32 v7, v5
.LBB0_9:
	s_lshl_b64 s[0:1], s[10:11], 3
	v_mul_hi_u32 v3, 0x4a7904b, v0
	s_add_u32 s0, s12, s0
	s_addc_u32 s1, s13, s1
	s_load_dwordx2 s[0:1], s[0:1], 0x0
	s_load_dwordx2 s[4:5], s[4:5], 0x20
	v_mul_u32_u24_e32 v3, 55, v3
	v_sub_nc_u32_e32 v84, v0, v3
	v_add_nc_u32_e32 v89, 55, v84
	s_waitcnt lgkmcnt(0)
	v_mul_lo_u32 v4, s0, v8
	v_mul_lo_u32 v5, s1, v7
	v_mad_u64_u32 v[1:2], null, s0, v7, v[1:2]
	v_cmp_gt_u64_e32 vcc_lo, s[4:5], v[7:8]
	v_cmp_le_u64_e64 s0, s[4:5], v[7:8]
	v_add3_u32 v2, v5, v2, v4
	s_and_saveexec_b32 s1, s0
	s_xor_b32 s0, exec_lo, s1
; %bb.10:
	v_add_nc_u32_e32 v89, 55, v84
; %bb.11:
	s_or_saveexec_b32 s1, s0
	v_lshlrev_b64 v[86:87], 4, v[1:2]
	v_lshl_add_u32 v88, v84, 4, 0
	s_xor_b32 exec_lo, exec_lo, s1
	s_cbranch_execz .LBB0_13
; %bb.12:
	v_mov_b32_e32 v85, 0
	v_add_co_u32 v2, s0, s2, v86
	v_add_co_ci_u32_e64 v3, s0, s3, v87, s0
	v_lshlrev_b64 v[0:1], 4, v[84:85]
	v_add_co_u32 v8, s0, v2, v0
	v_add_co_ci_u32_e64 v9, s0, v3, v1, s0
	s_clause 0x1
	global_load_dwordx4 v[0:3], v[8:9], off
	global_load_dwordx4 v[4:7], v[8:9], off offset:880
	v_add_co_u32 v16, s0, 0x800, v8
	v_add_co_ci_u32_e64 v17, s0, 0, v9, s0
	v_add_co_u32 v24, s0, 0x1000, v8
	v_add_co_ci_u32_e64 v25, s0, 0, v9, s0
	;; [unrolled: 2-line block ×6, first 2 shown]
	s_clause 0xc
	global_load_dwordx4 v[8:11], v[8:9], off offset:1760
	global_load_dwordx4 v[12:15], v[16:17], off offset:592
	;; [unrolled: 1-line block ×13, first 2 shown]
	s_waitcnt vmcnt(14)
	ds_write_b128 v88, v[0:3]
	s_waitcnt vmcnt(13)
	ds_write_b128 v88, v[4:7] offset:880
	s_waitcnt vmcnt(12)
	ds_write_b128 v88, v[8:11] offset:1760
	;; [unrolled: 2-line block ×14, first 2 shown]
.LBB0_13:
	s_or_b32 exec_lo, exec_lo, s1
	s_waitcnt lgkmcnt(0)
	s_barrier
	buffer_gl0_inv
	ds_read_b128 v[48:51], v88 offset:1200
	ds_read_b128 v[36:39], v88
	ds_read_b128 v[0:3], v88 offset:880
	ds_read_b128 v[12:15], v88 offset:2080
	;; [unrolled: 1-line block ×4, first 2 shown]
	s_mov_b32 s4, 0xf8bb580b
	s_mov_b32 s10, 0x8eee2c13
	;; [unrolled: 1-line block ×16, first 2 shown]
	s_waitcnt lgkmcnt(4)
	v_add_f64 v[4:5], v[36:37], v[48:49]
	v_add_f64 v[6:7], v[38:39], v[50:51]
	s_mov_b32 s27, 0x3fda9628
	s_mov_b32 s25, 0xbfc2375f
	;; [unrolled: 1-line block ×12, first 2 shown]
	v_mad_u32_u24 v85, 0xa0, v84, v88
	s_mov_b32 s33, exec_lo
	s_waitcnt lgkmcnt(1)
	v_add_f64 v[16:17], v[4:5], v[52:53]
	v_add_f64 v[18:19], v[6:7], v[54:55]
	ds_read_b128 v[56:59], v88 offset:3600
	ds_read_b128 v[4:7], v88 offset:4480
	;; [unrolled: 1-line block ×10, first 2 shown]
	s_waitcnt lgkmcnt(5)
	v_add_f64 v[108:109], v[80:81], v[72:73]
	v_add_f64 v[110:111], v[82:83], v[74:75]
	;; [unrolled: 1-line block ×4, first 2 shown]
	s_waitcnt lgkmcnt(2)
	v_add_f64 v[94:95], v[50:51], -v[62:63]
	v_add_f64 v[100:101], v[48:49], -v[60:61]
	s_waitcnt lgkmcnt(0)
	v_add_f64 v[102:103], v[90:91], v[76:77]
	v_add_f64 v[104:105], v[92:93], v[78:79]
	v_add_f64 v[106:107], v[54:55], -v[66:67]
	v_add_f64 v[114:115], v[52:53], -v[64:65]
	v_add_f64 v[48:49], v[48:49], v[60:61]
	v_add_f64 v[50:51], v[50:51], v[62:63]
	v_add_f64 v[112:113], v[58:59], -v[70:71]
	v_add_f64 v[116:117], v[56:57], -v[68:69]
	v_add_f64 v[52:53], v[52:53], v[64:65]
	v_add_f64 v[54:55], v[54:55], v[66:67]
	;; [unrolled: 1-line block ×6, first 2 shown]
	v_mul_f64 v[118:119], v[94:95], s[4:5]
	v_mul_f64 v[120:121], v[100:101], s[4:5]
	;; [unrolled: 1-line block ×7, first 2 shown]
	v_add_f64 v[80:81], v[80:81], -v[72:73]
	v_add_f64 v[82:83], v[82:83], -v[74:75]
	v_mul_f64 v[126:127], v[106:107], s[10:11]
	v_mul_f64 v[132:133], v[114:115], s[10:11]
	;; [unrolled: 1-line block ×6, first 2 shown]
	ds_read_b128 v[20:23], v88 offset:6880
	ds_read_b128 v[16:19], v88 offset:8080
	;; [unrolled: 1-line block ×4, first 2 shown]
	v_add_f64 v[96:97], v[32:33], v[90:91]
	v_add_f64 v[98:99], v[34:35], v[92:93]
	v_add_f64 v[90:91], v[90:91], -v[76:77]
	v_add_f64 v[92:93], v[92:93], -v[78:79]
	v_fma_f64 v[142:143], v[48:49], s[12:13], -v[118:119]
	v_fma_f64 v[118:119], v[48:49], s[12:13], v[118:119]
	v_fma_f64 v[144:145], v[50:51], s[12:13], v[120:121]
	v_fma_f64 v[146:147], v[48:49], s[22:23], -v[122:123]
	v_fma_f64 v[148:149], v[50:51], s[26:27], v[124:125]
	v_fma_f64 v[120:121], v[50:51], s[12:13], -v[120:121]
	v_fma_f64 v[124:125], v[50:51], s[26:27], -v[124:125]
	v_fma_f64 v[122:123], v[48:49], s[22:23], v[122:123]
	v_fma_f64 v[152:153], v[50:51], s[24:25], v[128:129]
	v_fma_f64 v[128:129], v[50:51], s[24:25], -v[128:129]
	v_fma_f64 v[156:157], v[50:51], s[14:15], v[100:101]
	v_fma_f64 v[150:151], v[52:53], s[26:27], -v[126:127]
	ds_read_b128 v[40:43], v88 offset:10480
	ds_read_b128 v[32:35], v88 offset:11680
	s_waitcnt lgkmcnt(0)
	s_barrier
	buffer_gl0_inv
	v_add_f64 v[76:77], v[96:97], v[76:77]
	v_add_f64 v[78:79], v[98:99], v[78:79]
	v_mul_f64 v[96:97], v[94:95], s[10:11]
	v_mul_f64 v[98:99], v[94:95], s[6:7]
	;; [unrolled: 1-line block ×3, first 2 shown]
	v_add_f64 v[142:143], v[36:37], v[142:143]
	v_add_f64 v[144:145], v[38:39], v[144:145]
	;; [unrolled: 1-line block ×13, first 2 shown]
	v_fma_f64 v[76:77], v[48:49], s[26:27], -v[96:97]
	v_fma_f64 v[78:79], v[48:49], s[26:27], v[96:97]
	v_fma_f64 v[96:97], v[48:49], s[24:25], -v[98:99]
	v_fma_f64 v[98:99], v[48:49], s[24:25], v[98:99]
	;; [unrolled: 2-line block ×3, first 2 shown]
	v_fma_f64 v[94:95], v[50:51], s[22:23], v[130:131]
	v_fma_f64 v[130:131], v[50:51], s[22:23], -v[130:131]
	v_fma_f64 v[50:51], v[50:51], s[14:15], -v[100:101]
	v_fma_f64 v[100:101], v[54:55], s[26:27], v[132:133]
	v_add_f64 v[142:143], v[150:151], v[142:143]
	v_fma_f64 v[150:151], v[54:55], s[14:15], v[140:141]
	v_fma_f64 v[140:141], v[54:55], s[14:15], -v[140:141]
	v_add_f64 v[68:69], v[72:73], v[68:69]
	v_add_f64 v[70:71], v[74:75], v[70:71]
	v_fma_f64 v[72:73], v[52:53], s[22:23], -v[134:135]
	v_fma_f64 v[74:75], v[54:55], s[22:23], v[136:137]
	v_add_f64 v[76:77], v[36:37], v[76:77]
	v_add_f64 v[78:79], v[36:37], v[78:79]
	v_add_f64 v[96:97], v[36:37], v[96:97]
	v_add_f64 v[98:99], v[36:37], v[98:99]
	v_add_f64 v[94:95], v[38:39], v[94:95]
	v_add_f64 v[130:131], v[38:39], v[130:131]
	v_add_f64 v[154:155], v[36:37], v[154:155]
	v_add_f64 v[36:37], v[36:37], v[48:49]
	v_add_f64 v[38:39], v[38:39], v[50:51]
	v_mul_f64 v[48:49], v[112:113], s[6:7]
	v_fma_f64 v[50:51], v[52:53], s[22:23], v[134:135]
	v_mul_f64 v[134:135], v[116:117], s[6:7]
	v_add_f64 v[100:101], v[100:101], v[144:145]
	v_mul_f64 v[144:145], v[116:117], s[16:17]
	v_add_f64 v[150:151], v[150:151], v[152:153]
	v_add_f64 v[128:129], v[140:141], v[128:129]
	v_mul_f64 v[140:141], v[82:83], s[4:5]
	v_add_f64 v[64:65], v[68:69], v[64:65]
	v_add_f64 v[66:67], v[70:71], v[66:67]
	v_mul_f64 v[68:69], v[112:113], s[16:17]
	v_fma_f64 v[70:71], v[54:55], s[22:23], -v[136:137]
	v_fma_f64 v[136:137], v[52:53], s[14:15], -v[138:139]
	v_fma_f64 v[138:139], v[52:53], s[14:15], v[138:139]
	v_add_f64 v[72:73], v[72:73], v[76:77]
	v_mul_f64 v[76:77], v[112:113], s[28:29]
	v_add_f64 v[74:75], v[74:75], v[148:149]
	v_fma_f64 v[148:149], v[56:57], s[24:25], -v[48:49]
	v_add_f64 v[50:51], v[50:51], v[78:79]
	v_fma_f64 v[78:79], v[58:59], s[24:25], v[134:135]
	v_fma_f64 v[48:49], v[56:57], s[24:25], v[48:49]
	;; [unrolled: 1-line block ×3, first 2 shown]
	v_fma_f64 v[144:145], v[58:59], s[14:15], -v[144:145]
	v_add_f64 v[70:71], v[70:71], v[124:125]
	v_mul_f64 v[124:125], v[82:83], s[20:21]
	v_add_f64 v[96:97], v[136:137], v[96:97]
	v_fma_f64 v[136:137], v[56:57], s[14:15], -v[68:69]
	v_add_f64 v[98:99], v[138:139], v[98:99]
	v_mul_f64 v[138:139], v[116:117], s[28:29]
	v_fma_f64 v[68:69], v[56:57], s[14:15], v[68:69]
	v_add_f64 v[142:143], v[148:149], v[142:143]
	v_fma_f64 v[148:149], v[56:57], s[26:27], -v[76:77]
	v_add_f64 v[78:79], v[78:79], v[100:101]
	v_mul_f64 v[100:101], v[80:81], s[20:21]
	v_add_f64 v[74:75], v[152:153], v[74:75]
	v_fma_f64 v[76:77], v[56:57], s[26:27], v[76:77]
	v_add_f64 v[70:71], v[144:145], v[70:71]
	v_fma_f64 v[144:145], v[108:109], s[22:23], -v[124:125]
	v_add_f64 v[72:73], v[136:137], v[72:73]
	v_mul_f64 v[136:137], v[82:83], s[30:31]
	v_fma_f64 v[152:153], v[58:59], s[26:27], v[138:139]
	v_add_f64 v[50:51], v[68:69], v[50:51]
	v_mul_f64 v[68:69], v[80:81], s[30:31]
	v_fma_f64 v[138:139], v[58:59], s[26:27], -v[138:139]
	v_add_f64 v[96:97], v[148:149], v[96:97]
	v_fma_f64 v[148:149], v[110:111], s[22:23], v[100:101]
	v_fma_f64 v[100:101], v[110:111], s[22:23], -v[100:101]
	v_add_f64 v[76:77], v[76:77], v[98:99]
	v_add_f64 v[142:143], v[144:145], v[142:143]
	;; [unrolled: 1-line block ×3, first 2 shown]
	v_fma_f64 v[152:153], v[108:109], s[24:25], -v[136:137]
	v_fma_f64 v[144:145], v[110:111], s[24:25], v[68:69]
	v_fma_f64 v[136:137], v[108:109], s[24:25], v[136:137]
	v_fma_f64 v[68:69], v[110:111], s[24:25], -v[68:69]
	v_add_f64 v[128:129], v[138:139], v[128:129]
	v_add_f64 v[78:79], v[148:149], v[78:79]
	v_mul_f64 v[148:149], v[106:107], s[30:31]
	v_mul_f64 v[106:107], v[106:107], s[34:35]
	v_add_f64 v[72:73], v[152:153], v[72:73]
	v_mul_f64 v[152:153], v[114:115], s[30:31]
	v_add_f64 v[74:75], v[144:145], v[74:75]
	v_add_f64 v[136:137], v[136:137], v[50:51]
	;; [unrolled: 1-line block ×3, first 2 shown]
	v_mul_f64 v[114:115], v[114:115], s[34:35]
	v_fma_f64 v[144:145], v[52:53], s[24:25], -v[148:149]
	v_fma_f64 v[148:149], v[52:53], s[24:25], v[148:149]
	v_fma_f64 v[98:99], v[52:53], s[12:13], -v[106:107]
	v_fma_f64 v[106:107], v[52:53], s[12:13], v[106:107]
	v_fma_f64 v[52:53], v[52:53], s[26:27], v[126:127]
	;; [unrolled: 1-line block ×3, first 2 shown]
	v_fma_f64 v[152:153], v[54:55], s[24:25], -v[152:153]
	v_fma_f64 v[126:127], v[54:55], s[12:13], v[114:115]
	v_fma_f64 v[114:115], v[54:55], s[12:13], -v[114:115]
	v_fma_f64 v[54:55], v[54:55], s[26:27], -v[132:133]
	v_add_f64 v[144:145], v[144:145], v[146:147]
	v_mul_f64 v[146:147], v[80:81], s[4:5]
	v_add_f64 v[98:99], v[98:99], v[154:155]
	v_mul_f64 v[154:155], v[82:83], s[18:19]
	v_add_f64 v[36:37], v[106:107], v[36:37]
	v_add_f64 v[122:123], v[148:149], v[122:123]
	;; [unrolled: 1-line block ×3, first 2 shown]
	v_mul_f64 v[82:83], v[82:83], s[28:29]
	v_mul_f64 v[148:149], v[92:93], s[34:35]
	v_add_f64 v[50:51], v[50:51], v[94:95]
	v_fma_f64 v[94:95], v[108:109], s[12:13], -v[140:141]
	v_add_f64 v[130:131], v[152:153], v[130:131]
	v_mul_f64 v[152:153], v[90:91], s[34:35]
	v_add_f64 v[126:127], v[126:127], v[156:157]
	v_mul_f64 v[156:157], v[80:81], s[18:19]
	v_add_f64 v[38:39], v[114:115], v[38:39]
	v_add_f64 v[54:55], v[54:55], v[120:121]
	v_fma_f64 v[70:71], v[110:111], s[12:13], v[146:147]
	v_mul_f64 v[80:81], v[80:81], s[28:29]
	v_fma_f64 v[146:147], v[110:111], s[12:13], -v[146:147]
	v_fma_f64 v[140:141], v[108:109], s[12:13], v[140:141]
	v_add_f64 v[48:49], v[48:49], v[52:53]
	v_fma_f64 v[52:53], v[108:109], s[26:27], -v[82:83]
	v_fma_f64 v[82:83], v[108:109], s[26:27], v[82:83]
	v_add_f64 v[94:95], v[94:95], v[96:97]
	v_mul_f64 v[96:97], v[112:113], s[4:5]
	v_mul_f64 v[112:113], v[112:113], s[20:21]
	v_add_f64 v[70:71], v[70:71], v[150:151]
	v_mul_f64 v[150:151], v[116:117], s[4:5]
	v_mul_f64 v[116:117], v[116:117], s[20:21]
	v_add_f64 v[128:129], v[146:147], v[128:129]
	v_add_f64 v[76:77], v[140:141], v[76:77]
	v_fma_f64 v[132:133], v[56:57], s[12:13], -v[96:97]
	v_fma_f64 v[106:107], v[56:57], s[22:23], -v[112:113]
	v_fma_f64 v[112:113], v[56:57], s[22:23], v[112:113]
	v_fma_f64 v[96:97], v[56:57], s[12:13], v[96:97]
	v_mul_f64 v[56:57], v[92:93], s[20:21]
	v_fma_f64 v[138:139], v[58:59], s[12:13], v[150:151]
	v_fma_f64 v[150:151], v[58:59], s[12:13], -v[150:151]
	v_fma_f64 v[114:115], v[58:59], s[22:23], v[116:117]
	v_fma_f64 v[116:117], v[58:59], s[22:23], -v[116:117]
	v_fma_f64 v[58:59], v[58:59], s[24:25], -v[134:135]
	;; [unrolled: 1-line block ×3, first 2 shown]
	v_fma_f64 v[148:149], v[102:103], s[12:13], v[148:149]
	v_add_f64 v[132:133], v[132:133], v[144:145]
	v_mul_f64 v[144:145], v[92:93], s[18:19]
	v_add_f64 v[98:99], v[106:107], v[98:99]
	v_fma_f64 v[106:107], v[108:109], s[14:15], -v[154:155]
	v_add_f64 v[36:37], v[112:113], v[36:37]
	v_mul_f64 v[112:113], v[92:93], s[28:29]
	v_add_f64 v[96:97], v[96:97], v[122:123]
	v_add_f64 v[50:51], v[138:139], v[50:51]
	v_mul_f64 v[138:139], v[90:91], s[18:19]
	v_add_f64 v[130:131], v[150:151], v[130:131]
	v_mul_f64 v[150:151], v[90:91], s[20:21]
	v_add_f64 v[114:115], v[114:115], v[126:127]
	v_fma_f64 v[126:127], v[110:111], s[14:15], v[156:157]
	v_add_f64 v[38:39], v[116:117], v[38:39]
	v_mul_f64 v[116:117], v[90:91], s[28:29]
	v_fma_f64 v[154:155], v[108:109], s[14:15], v[154:155]
	v_fma_f64 v[156:157], v[110:111], s[14:15], -v[156:157]
	v_add_f64 v[54:55], v[58:59], v[54:55]
	v_fma_f64 v[58:59], v[110:111], s[26:27], v[80:81]
	v_mul_f64 v[92:93], v[92:93], s[6:7]
	v_mul_f64 v[90:91], v[90:91], s[6:7]
	v_fma_f64 v[80:81], v[110:111], s[26:27], -v[80:81]
	v_fma_f64 v[108:109], v[108:109], s[22:23], v[124:125]
	v_fma_f64 v[118:119], v[102:103], s[14:15], -v[144:145]
	v_fma_f64 v[122:123], v[104:105], s[12:13], v[152:153]
	v_fma_f64 v[124:125], v[102:103], s[22:23], -v[56:57]
	v_fma_f64 v[152:153], v[104:105], s[12:13], -v[152:153]
	v_add_f64 v[106:107], v[106:107], v[132:133]
	v_fma_f64 v[132:133], v[102:103], s[26:27], -v[112:113]
	v_add_f64 v[98:99], v[52:53], v[98:99]
	v_fma_f64 v[120:121], v[104:105], s[14:15], v[138:139]
	v_fma_f64 v[140:141], v[102:103], s[22:23], v[56:57]
	v_fma_f64 v[110:111], v[104:105], s[22:23], v[150:151]
	v_fma_f64 v[146:147], v[104:105], s[22:23], -v[150:151]
	v_add_f64 v[126:127], v[126:127], v[50:51]
	v_add_f64 v[82:83], v[82:83], v[36:37]
	v_fma_f64 v[150:151], v[104:105], s[26:27], v[116:117]
	v_add_f64 v[96:97], v[154:155], v[96:97]
	v_add_f64 v[130:131], v[156:157], v[130:131]
	v_fma_f64 v[112:113], v[102:103], s[26:27], v[112:113]
	v_add_f64 v[114:115], v[58:59], v[114:115]
	v_fma_f64 v[154:155], v[102:103], s[24:25], -v[92:93]
	v_fma_f64 v[156:157], v[104:105], s[24:25], v[90:91]
	v_add_f64 v[80:81], v[80:81], v[38:39]
	v_fma_f64 v[92:93], v[102:103], s[24:25], v[92:93]
	v_fma_f64 v[90:91], v[104:105], s[24:25], -v[90:91]
	v_fma_f64 v[116:117], v[104:105], s[26:27], -v[116:117]
	v_add_f64 v[108:109], v[108:109], v[48:49]
	v_add_f64 v[100:101], v[100:101], v[54:55]
	v_fma_f64 v[102:103], v[102:103], s[14:15], v[144:145]
	v_fma_f64 v[104:105], v[104:105], s[14:15], -v[138:139]
	v_add_f64 v[36:37], v[64:65], v[60:61]
	v_add_f64 v[38:39], v[66:67], v[62:63]
	;; [unrolled: 1-line block ×22, first 2 shown]
	ds_write_b128 v85, v[36:39]
	ds_write_b128 v85, v[48:51] offset:16
	ds_write_b128 v85, v[52:55] offset:32
	;; [unrolled: 1-line block ×10, first 2 shown]
	v_cmpx_gt_u32_e32 20, v84
	s_cbranch_execz .LBB0_15
; %bb.14:
	v_add_f64 v[66:67], v[14:15], v[30:31]
	v_add_f64 v[80:81], v[14:15], -v[30:31]
	v_add_f64 v[76:77], v[10:11], v[34:35]
	v_add_f64 v[74:75], v[12:13], -v[28:29]
	v_add_f64 v[82:83], v[10:11], -v[34:35]
	v_add_f64 v[78:79], v[12:13], v[28:29]
	v_add_f64 v[64:65], v[6:7], v[42:43]
	v_add_f64 v[72:73], v[6:7], -v[42:43]
	v_add_f64 v[68:69], v[8:9], -v[32:33]
	v_add_f64 v[70:71], v[8:9], v[32:33]
	v_add_f64 v[14:15], v[2:3], v[14:15]
	;; [unrolled: 1-line block ×3, first 2 shown]
	s_mov_b32 s1, 0x3fe82f19
	s_mov_b32 s0, s20
	v_add_f64 v[62:63], v[26:27], -v[46:47]
	v_add_f64 v[58:59], v[4:5], -v[40:41]
	v_add_f64 v[60:61], v[4:5], v[40:41]
	v_add_f64 v[56:57], v[26:27], v[46:47]
	;; [unrolled: 1-line block ×3, first 2 shown]
	v_add_f64 v[38:39], v[24:25], -v[44:45]
	v_add_f64 v[50:51], v[22:23], v[18:19]
	v_add_f64 v[36:37], v[20:21], -v[16:17]
	v_mul_f64 v[90:91], v[66:67], s[14:15]
	v_mul_f64 v[92:93], v[80:81], s[18:19]
	;; [unrolled: 1-line block ×12, first 2 shown]
	v_add_f64 v[10:11], v[14:15], v[10:11]
	v_add_f64 v[8:9], v[12:13], v[8:9]
	v_mul_f64 v[120:121], v[64:65], s[12:13]
	v_mul_f64 v[12:13], v[76:77], s[14:15]
	;; [unrolled: 1-line block ×8, first 2 shown]
	v_fma_f64 v[116:117], v[74:75], s[16:17], v[90:91]
	v_fma_f64 v[124:125], v[78:79], s[14:15], v[92:93]
	;; [unrolled: 1-line block ×3, first 2 shown]
	v_fma_f64 v[92:93], v[78:79], s[14:15], -v[92:93]
	v_fma_f64 v[136:137], v[74:75], s[0:1], v[94:95]
	v_fma_f64 v[14:15], v[78:79], s[22:23], v[96:97]
	;; [unrolled: 1-line block ×6, first 2 shown]
	v_fma_f64 v[112:113], v[70:71], s[12:13], -v[112:113]
	v_fma_f64 v[96:97], v[78:79], s[22:23], -v[96:97]
	v_fma_f64 v[152:153], v[68:69], s[6:7], v[122:123]
	v_fma_f64 v[154:155], v[74:75], s[30:31], v[128:129]
	;; [unrolled: 1-line block ×5, first 2 shown]
	v_add_f64 v[4:5], v[8:9], v[4:5]
	v_fma_f64 v[132:133], v[70:71], s[24:25], -v[132:133]
	v_add_f64 v[6:7], v[10:11], v[6:7]
	v_mul_f64 v[10:11], v[72:73], s[28:29]
	v_mul_f64 v[142:143], v[56:57], s[12:13]
	v_add_f64 v[116:117], v[2:3], v[116:117]
	v_add_f64 v[124:125], v[0:1], v[124:125]
	;; [unrolled: 1-line block ×5, first 2 shown]
	v_mul_f64 v[150:151], v[62:63], s[4:5]
	v_add_f64 v[8:9], v[2:3], v[94:95]
	v_fma_f64 v[94:95], v[58:59], s[0:1], v[104:105]
	v_fma_f64 v[104:105], v[58:59], s[20:21], v[104:105]
	v_add_f64 v[48:49], v[20:21], v[16:17]
	v_mul_f64 v[114:115], v[50:51], s[26:27]
	v_add_f64 v[96:97], v[0:1], v[96:97]
	v_add_f64 v[52:53], v[22:23], -v[18:19]
	v_add_f64 v[154:155], v[2:3], v[154:155]
	v_add_f64 v[156:157], v[0:1], v[156:157]
	v_fma_f64 v[128:129], v[74:75], s[6:7], v[128:129]
	v_add_f64 v[14:15], v[0:1], v[14:15]
	v_add_f64 v[4:5], v[4:5], v[24:25]
	v_mul_f64 v[24:25], v[80:81], s[4:5]
	v_add_f64 v[6:7], v[6:7], v[26:27]
	v_mul_f64 v[26:27], v[80:81], s[10:11]
	v_mul_f64 v[134:135], v[62:63], s[18:19]
	v_add_f64 v[116:117], v[144:145], v[116:117]
	v_fma_f64 v[144:145], v[60:61], s[22:23], v[110:111]
	v_fma_f64 v[110:111], v[60:61], s[22:23], -v[110:111]
	v_add_f64 v[90:91], v[102:103], v[90:91]
	v_add_f64 v[92:93], v[112:113], v[92:93]
	;; [unrolled: 1-line block ×3, first 2 shown]
	v_fma_f64 v[102:103], v[68:69], s[18:19], v[12:13]
	v_fma_f64 v[112:113], v[58:59], s[34:35], v[120:121]
	;; [unrolled: 1-line block ×3, first 2 shown]
	v_add_f64 v[136:137], v[152:153], v[136:137]
	v_fma_f64 v[120:121], v[58:59], s[4:5], v[120:121]
	v_add_f64 v[8:9], v[122:123], v[8:9]
	v_add_f64 v[96:97], v[132:133], v[96:97]
	v_fma_f64 v[122:123], v[38:39], s[10:11], v[100:101]
	v_fma_f64 v[132:133], v[38:39], s[16:17], v[118:119]
	;; [unrolled: 1-line block ×4, first 2 shown]
	v_add_f64 v[4:5], v[4:5], v[20:21]
	v_fma_f64 v[20:21], v[78:79], s[12:13], -v[24:25]
	v_add_f64 v[6:7], v[6:7], v[22:23]
	v_fma_f64 v[22:23], v[78:79], s[26:27], -v[26:27]
	v_fma_f64 v[26:27], v[78:79], s[26:27], v[26:27]
	v_add_f64 v[94:95], v[94:95], v[116:117]
	v_fma_f64 v[116:117], v[54:55], s[26:27], v[108:109]
	v_fma_f64 v[108:109], v[54:55], s[26:27], -v[108:109]
	v_add_f64 v[90:91], v[104:105], v[90:91]
	v_add_f64 v[92:93], v[110:111], v[92:93]
	v_fma_f64 v[104:105], v[60:61], s[12:13], -v[138:139]
	v_fma_f64 v[110:111], v[78:79], s[24:25], -v[130:131]
	v_fma_f64 v[130:131], v[58:59], s[10:11], v[146:147]
	v_add_f64 v[102:103], v[102:103], v[154:155]
	v_add_f64 v[112:113], v[112:113], v[136:137]
	v_fma_f64 v[136:137], v[60:61], s[26:27], v[10:11]
	v_add_f64 v[148:149], v[148:149], v[156:157]
	v_add_f64 v[8:9], v[120:121], v[8:9]
	v_fma_f64 v[120:121], v[38:39], s[34:35], v[142:143]
	v_fma_f64 v[138:139], v[36:37], s[10:11], v[114:115]
	;; [unrolled: 1-line block ×4, first 2 shown]
	v_add_f64 v[4:5], v[4:5], v[16:17]
	v_add_f64 v[16:17], v[0:1], v[20:21]
	;; [unrolled: 1-line block ×4, first 2 shown]
	v_fma_f64 v[12:13], v[68:69], s[16:17], v[12:13]
	v_add_f64 v[94:95], v[122:123], v[94:95]
	v_mul_f64 v[122:123], v[66:67], s[26:27]
	v_mul_f64 v[66:67], v[66:67], s[12:13]
	v_add_f64 v[128:129], v[2:3], v[128:129]
	v_add_f64 v[92:93], v[108:109], v[92:93]
	;; [unrolled: 1-line block ×3, first 2 shown]
	v_fma_f64 v[104:105], v[70:71], s[14:15], -v[140:141]
	v_add_f64 v[108:109], v[0:1], v[110:111]
	v_add_f64 v[102:103], v[130:131], v[102:103]
	;; [unrolled: 1-line block ×3, first 2 shown]
	v_fma_f64 v[130:131], v[54:55], s[12:13], v[150:151]
	v_add_f64 v[132:133], v[136:137], v[148:149]
	v_add_f64 v[118:119], v[118:119], v[8:9]
	v_fma_f64 v[8:9], v[60:61], s[26:27], -v[10:11]
	v_fma_f64 v[136:137], v[38:39], s[4:5], v[142:143]
	v_add_f64 v[26:27], v[0:1], v[26:27]
	v_add_f64 v[124:125], v[144:145], v[124:125]
	;; [unrolled: 1-line block ×5, first 2 shown]
	v_fma_f64 v[100:101], v[38:39], s[28:29], v[100:101]
	v_mul_f64 v[98:99], v[50:51], s[24:25]
	v_mul_f64 v[106:107], v[52:53], s[6:7]
	v_mul_f64 v[126:127], v[52:53], s[28:29]
	v_mul_f64 v[110:111], v[50:51], s[22:23]
	v_add_f64 v[12:13], v[12:13], v[128:129]
	v_fma_f64 v[154:155], v[54:55], s[14:15], v[134:135]
	v_add_f64 v[10:11], v[104:105], v[108:109]
	v_add_f64 v[102:103], v[120:121], v[102:103]
	v_mul_f64 v[104:105], v[76:77], s[22:23]
	v_fma_f64 v[108:109], v[74:75], s[10:11], v[122:123]
	v_mul_f64 v[120:121], v[82:83], s[20:21]
	v_add_f64 v[130:131], v[130:131], v[132:133]
	v_mul_f64 v[76:77], v[76:77], s[26:27]
	v_fma_f64 v[132:133], v[74:75], s[4:5], v[66:67]
	v_mul_f64 v[82:83], v[82:83], s[10:11]
	v_fma_f64 v[122:123], v[74:75], s[28:29], v[122:123]
	v_fma_f64 v[66:67], v[74:75], s[34:35], v[66:67]
	v_mul_f64 v[74:75], v[72:73], s[16:17]
	v_mul_f64 v[72:73], v[72:73], s[6:7]
	v_add_f64 v[6:7], v[6:7], v[42:43]
	v_add_f64 v[4:5], v[4:5], v[40:41]
	;; [unrolled: 1-line block ×3, first 2 shown]
	v_mul_f64 v[124:125], v[52:53], s[20:21]
	v_add_f64 v[14:15], v[152:153], v[14:15]
	v_add_f64 v[12:13], v[114:115], v[12:13]
	v_fma_f64 v[114:115], v[54:55], s[12:13], -v[150:151]
	v_add_f64 v[90:91], v[100:101], v[90:91]
	v_fma_f64 v[100:101], v[54:55], s[14:15], -v[134:135]
	v_add_f64 v[8:9], v[8:9], v[10:11]
	v_fma_f64 v[10:11], v[78:79], s[12:13], v[24:25]
	v_mul_f64 v[24:25], v[64:65], s[14:15]
	v_fma_f64 v[78:79], v[68:69], s[20:21], v[104:105]
	v_add_f64 v[108:109], v[2:3], v[108:109]
	v_mul_f64 v[64:65], v[64:65], s[24:25]
	v_fma_f64 v[142:143], v[68:69], s[10:11], v[76:77]
	v_add_f64 v[132:133], v[2:3], v[132:133]
	v_fma_f64 v[146:147], v[70:71], s[26:27], -v[82:83]
	v_fma_f64 v[140:141], v[70:71], s[22:23], -v[120:121]
	v_fma_f64 v[20:21], v[68:69], s[0:1], v[104:105]
	v_add_f64 v[22:23], v[2:3], v[122:123]
	v_fma_f64 v[104:105], v[70:71], s[22:23], v[120:121]
	v_fma_f64 v[68:69], v[68:69], s[28:29], v[76:77]
	v_add_f64 v[2:3], v[2:3], v[66:67]
	v_fma_f64 v[66:67], v[70:71], s[26:27], v[82:83]
	v_mul_f64 v[70:71], v[62:63], s[30:31]
	v_mul_f64 v[62:63], v[62:63], s[20:21]
	v_fma_f64 v[122:123], v[60:61], s[24:25], -v[72:73]
	v_fma_f64 v[82:83], v[60:61], s[14:15], -v[74:75]
	v_fma_f64 v[46:47], v[60:61], s[24:25], v[72:73]
	v_add_f64 v[34:35], v[6:7], v[34:35]
	v_add_f64 v[32:33], v[4:5], v[32:33]
	;; [unrolled: 1-line block ×3, first 2 shown]
	v_mul_f64 v[10:11], v[56:57], s[24:25]
	v_fma_f64 v[76:77], v[58:59], s[16:17], v[24:25]
	v_add_f64 v[78:79], v[78:79], v[108:109]
	v_mul_f64 v[56:57], v[56:57], s[22:23]
	v_fma_f64 v[108:109], v[58:59], s[6:7], v[64:65]
	v_add_f64 v[120:121], v[142:143], v[132:133]
	v_add_f64 v[16:17], v[146:147], v[16:17]
	;; [unrolled: 1-line block ×3, first 2 shown]
	v_fma_f64 v[24:25], v[58:59], s[18:19], v[24:25]
	v_add_f64 v[20:21], v[20:21], v[22:23]
	v_fma_f64 v[22:23], v[60:61], s[14:15], v[74:75]
	v_add_f64 v[26:27], v[104:105], v[26:27]
	;; [unrolled: 2-line block ×3, first 2 shown]
	v_mul_f64 v[58:59], v[50:51], s[12:13]
	v_mul_f64 v[60:61], v[52:53], s[34:35]
	;; [unrolled: 1-line block ×4, first 2 shown]
	v_fma_f64 v[68:69], v[54:55], s[24:25], -v[70:71]
	v_fma_f64 v[40:41], v[36:37], s[20:21], v[110:111]
	v_add_f64 v[12:13], v[136:137], v[12:13]
	v_add_f64 v[0:1], v[66:67], v[0:1]
	v_fma_f64 v[64:65], v[38:39], s[30:31], v[10:11]
	v_fma_f64 v[10:11], v[38:39], s[6:7], v[10:11]
	v_add_f64 v[66:67], v[76:77], v[78:79]
	v_fma_f64 v[72:73], v[38:39], s[20:21], v[56:57]
	v_fma_f64 v[76:77], v[54:55], s[22:23], -v[62:63]
	v_add_f64 v[74:75], v[108:109], v[120:121]
	v_add_f64 v[16:17], v[122:123], v[16:17]
	;; [unrolled: 1-line block ×3, first 2 shown]
	v_fma_f64 v[42:43], v[48:49], s[22:23], -v[124:125]
	v_add_f64 v[20:21], v[24:25], v[20:21]
	v_fma_f64 v[24:25], v[54:55], s[24:25], v[70:71]
	v_add_f64 v[22:23], v[22:23], v[26:27]
	v_fma_f64 v[26:27], v[38:39], s[0:1], v[56:57]
	v_add_f64 v[2:3], v[44:45], v[2:3]
	v_fma_f64 v[38:39], v[54:55], s[22:23], v[62:63]
	v_fma_f64 v[56:57], v[48:49], s[12:13], -v[60:61]
	v_fma_f64 v[62:63], v[36:37], s[18:19], v[50:51]
	v_add_f64 v[44:45], v[114:115], v[8:9]
	v_fma_f64 v[134:135], v[48:49], s[26:27], v[126:127]
	v_add_f64 v[14:15], v[154:155], v[14:15]
	v_fma_f64 v[126:127], v[48:49], s[26:27], -v[126:127]
	v_add_f64 v[0:1], v[46:47], v[0:1]
	v_fma_f64 v[46:47], v[36:37], s[34:35], v[58:59]
	v_add_f64 v[96:97], v[100:101], v[96:97]
	v_add_f64 v[54:55], v[64:65], v[66:67]
	v_fma_f64 v[66:67], v[48:49], s[14:15], -v[52:53]
	v_fma_f64 v[158:159], v[36:37], s[30:31], v[98:99]
	v_add_f64 v[64:65], v[72:73], v[74:75]
	v_add_f64 v[16:17], v[76:77], v[16:17]
	;; [unrolled: 1-line block ×3, first 2 shown]
	v_fma_f64 v[144:145], v[48:49], s[24:25], v[106:107]
	v_fma_f64 v[98:99], v[36:37], s[6:7], v[98:99]
	v_fma_f64 v[106:107], v[48:49], s[24:25], -v[106:107]
	v_fma_f64 v[100:101], v[36:37], s[0:1], v[110:111]
	v_fma_f64 v[128:129], v[48:49], s[22:23], v[124:125]
	;; [unrolled: 1-line block ×3, first 2 shown]
	v_add_f64 v[70:71], v[10:11], v[20:21]
	v_fma_f64 v[60:61], v[48:49], s[12:13], v[60:61]
	v_add_f64 v[72:73], v[24:25], v[22:23]
	v_fma_f64 v[50:51], v[36:37], s[16:17], v[50:51]
	;; [unrolled: 2-line block ×3, first 2 shown]
	v_add_f64 v[30:31], v[34:35], v[30:31]
	v_add_f64 v[52:53], v[38:39], v[0:1]
	;; [unrolled: 1-line block ×22, first 2 shown]
	v_mad_i32_i24 v44, 0xb0, v89, 0
	v_add_f64 v[40:41], v[48:49], v[52:53]
	ds_write_b128 v44, v[28:31]
	ds_write_b128 v44, v[24:27] offset:16
	ds_write_b128 v44, v[20:23] offset:32
	;; [unrolled: 1-line block ×10, first 2 shown]
.LBB0_15:
	s_or_b32 exec_lo, exec_lo, s33
	v_and_b32_e32 v0, 0xff, v84
	v_and_b32_e32 v1, 0xff, v89
	v_add_nc_u32_e32 v68, 0x6e, v84
	v_mov_b32_e32 v20, 6
	s_waitcnt lgkmcnt(0)
	v_mul_lo_u16 v0, 0x75, v0
	v_mul_lo_u16 v1, 0x75, v1
	v_and_b32_e32 v65, 0xff, v68
	s_barrier
	buffer_gl0_inv
	v_lshrrev_b16 v0, 8, v0
	v_lshrrev_b16 v1, 8, v1
	v_mul_lo_u16 v3, 0x75, v65
	v_mad_i32_i24 v66, 0xffffff60, v84, v85
	v_mul_lo_u16 v85, 0x95, v65
	v_sub_nc_u16 v2, v84, v0
	v_sub_nc_u16 v4, v89, v1
	v_lshrrev_b16 v3, 8, v3
	v_lshlrev_b32_e32 v64, 2, v84
	v_mov_b32_e32 v65, 0
	v_lshrrev_b16 v2, 1, v2
	v_lshrrev_b16 v4, 1, v4
	v_sub_nc_u16 v5, v68, v3
	v_mov_b32_e32 v128, 0x370
	v_mov_b32_e32 v75, 4
	v_and_b32_e32 v2, 0x7f, v2
	v_lshrrev_b16 v85, 13, v85
	v_lshlrev_b64 v[126:127], 4, v[64:65]
	v_lshl_add_u32 v67, v89, 4, 0
	s_mov_b32 s12, 0x134454ff
	v_add_nc_u16 v0, v2, v0
	v_and_b32_e32 v2, 0x7f, v4
	v_lshrrev_b16 v4, 1, v5
	v_mul_lo_u16 v64, v85, 55
	s_mov_b32 s13, 0x3fee6f0e
	v_lshrrev_b16 v71, 3, v0
	v_add_nc_u16 v0, v2, v1
	v_and_b32_e32 v1, 0x7f, v4
	s_mov_b32 s15, 0xbfee6f0e
	s_mov_b32 s14, s12
	v_mul_lo_u16 v2, v71, 11
	v_lshrrev_b16 v72, 3, v0
	v_add_nc_u16 v0, v1, v3
	v_mul_u32_u24_sdwa v85, v71, v128 dst_sel:DWORD dst_unused:UNUSED_PAD src0_sel:WORD_0 src1_sel:DWORD
	s_mov_b32 s6, 0x4755a5e
	v_sub_nc_u16 v73, v84, v2
	v_mul_lo_u16 v1, v72, 11
	v_lshrrev_b16 v74, 3, v0
	v_mul_u32_u24_sdwa v172, v72, v128 dst_sel:DWORD dst_unused:UNUSED_PAD src0_sel:WORD_0 src1_sel:DWORD
	s_mov_b32 s7, 0x3fe2cf23
	v_lshlrev_b32_sdwa v0, v20, v73 dst_sel:DWORD dst_unused:UNUSED_PAD src0_sel:DWORD src1_sel:BYTE_0
	v_sub_nc_u16 v70, v89, v1
	v_mul_lo_u16 v1, v74, 11
	v_mul_u32_u24_sdwa v173, v74, v128 dst_sel:DWORD dst_unused:UNUSED_PAD src0_sel:WORD_0 src1_sel:DWORD
	v_lshlrev_b32_sdwa v174, v75, v73 dst_sel:DWORD dst_unused:UNUSED_PAD src0_sel:DWORD src1_sel:BYTE_0
	s_clause 0x1
	global_load_dwordx4 v[16:19], v0, s[8:9]
	global_load_dwordx4 v[8:11], v0, s[8:9] offset:16
	v_lshlrev_b32_sdwa v2, v20, v70 dst_sel:DWORD dst_unused:UNUSED_PAD src0_sel:DWORD src1_sel:BYTE_0
	global_load_dwordx4 v[4:7], v0, s[8:9] offset:32
	v_sub_nc_u16 v69, v68, v1
	s_clause 0x2
	global_load_dwordx4 v[28:31], v0, s[8:9] offset:48
	global_load_dwordx4 v[24:27], v2, s[8:9]
	global_load_dwordx4 v[12:15], v2, s[8:9] offset:16
	v_lshlrev_b32_sdwa v175, v75, v70 dst_sel:DWORD dst_unused:UNUSED_PAD src0_sel:DWORD src1_sel:BYTE_0
	s_mov_b32 s11, 0xbfe2cf23
	v_lshlrev_b32_sdwa v0, v20, v69 dst_sel:DWORD dst_unused:UNUSED_PAD src0_sel:DWORD src1_sel:BYTE_0
	s_clause 0x5
	global_load_dwordx4 v[32:35], v2, s[8:9] offset:32
	global_load_dwordx4 v[20:23], v2, s[8:9] offset:48
	global_load_dwordx4 v[48:51], v0, s[8:9]
	global_load_dwordx4 v[44:47], v0, s[8:9] offset:16
	global_load_dwordx4 v[40:43], v0, s[8:9] offset:32
	;; [unrolled: 1-line block ×3, first 2 shown]
	ds_read_b128 v[0:3], v88
	ds_read_b128 v[56:59], v88 offset:3520
	ds_read_b128 v[60:63], v88 offset:7920
	;; [unrolled: 1-line block ×12, first 2 shown]
	ds_read_b128 v[118:121], v67
	ds_read_b128 v[122:125], v66 offset:1760
	s_mov_b32 s10, s6
	s_mov_b32 s4, 0x372fe950
	;; [unrolled: 1-line block ×3, first 2 shown]
	v_add_co_u32 v126, s0, s8, v126
	v_sub_nc_u16 v64, v68, v64
	v_add_co_ci_u32_e64 v127, s0, s9, v127, s0
	s_waitcnt vmcnt(0) lgkmcnt(0)
	s_barrier
	buffer_gl0_inv
	v_mul_f64 v[71:72], v[116:117], v[18:19]
	v_mul_f64 v[18:19], v[114:115], v[18:19]
	;; [unrolled: 1-line block ×24, first 2 shown]
	v_fma_f64 v[71:72], v[114:115], v[16:17], -v[71:72]
	v_fma_f64 v[16:17], v[116:117], v[16:17], v[18:19]
	v_fma_f64 v[18:19], v[76:77], v[8:9], -v[73:74]
	v_fma_f64 v[8:9], v[78:79], v[8:9], v[10:11]
	;; [unrolled: 2-line block ×12, first 2 shown]
	v_add_f64 v[38:39], v[0:1], v[71:72]
	v_add_f64 v[78:79], v[2:3], v[16:17]
	;; [unrolled: 1-line block ×6, first 2 shown]
	v_add_f64 v[52:53], v[16:17], -v[60:61]
	v_add_f64 v[56:57], v[71:72], -v[18:19]
	;; [unrolled: 1-line block ×9, first 2 shown]
	v_add_f64 v[98:99], v[118:119], v[28:29]
	v_add_f64 v[100:101], v[26:27], v[14:15]
	v_add_f64 v[116:117], v[120:121], v[24:25]
	v_add_f64 v[128:129], v[12:13], v[30:31]
	v_add_f64 v[110:111], v[28:29], v[32:33]
	v_add_f64 v[134:135], v[24:25], v[20:21]
	v_add_f64 v[102:103], v[24:25], -v[20:21]
	v_add_f64 v[106:107], v[28:29], -v[26:27]
	;; [unrolled: 1-line block ×6, first 2 shown]
	v_add_f64 v[140:141], v[122:123], v[22:23]
	v_add_f64 v[142:143], v[48:49], v[46:47]
	;; [unrolled: 1-line block ×4, first 2 shown]
	v_add_f64 v[112:113], v[26:27], -v[28:29]
	v_add_f64 v[114:115], v[14:15], -v[32:33]
	v_add_f64 v[148:149], v[22:23], v[42:43]
	v_add_f64 v[162:163], v[34:35], v[36:37]
	v_add_f64 v[54:55], v[8:9], -v[4:5]
	v_add_f64 v[70:71], v[71:72], -v[6:7]
	;; [unrolled: 1-line block ×3, first 2 shown]
	v_fma_f64 v[50:51], v[50:51], -0.5, v[0:1]
	v_fma_f64 v[0:1], v[62:63], -0.5, v[0:1]
	;; [unrolled: 1-line block ×3, first 2 shown]
	v_add_f64 v[18:19], v[38:39], v[18:19]
	v_add_f64 v[8:9], v[78:79], v[8:9]
	v_fma_f64 v[2:3], v[94:95], -0.5, v[2:3]
	v_add_f64 v[104:105], v[12:13], -v[30:31]
	v_add_f64 v[28:29], v[28:29], -v[32:33]
	;; [unrolled: 1-line block ×3, first 2 shown]
	v_add_f64 v[38:39], v[56:57], v[58:59]
	v_add_f64 v[56:57], v[73:74], v[76:77]
	;; [unrolled: 1-line block ×6, first 2 shown]
	v_fma_f64 v[26:27], v[100:101], -0.5, v[118:119]
	v_fma_f64 v[92:93], v[128:129], -0.5, v[120:121]
	;; [unrolled: 1-line block ×4, first 2 shown]
	v_add_f64 v[144:145], v[22:23], -v[48:49]
	v_add_f64 v[150:151], v[48:49], -v[22:23]
	;; [unrolled: 1-line block ×8, first 2 shown]
	v_add_f64 v[76:77], v[106:107], v[108:109]
	v_add_f64 v[96:97], v[24:25], v[136:137]
	;; [unrolled: 1-line block ×3, first 2 shown]
	v_fma_f64 v[48:49], v[142:143], -0.5, v[122:123]
	v_add_f64 v[44:45], v[154:155], v[44:45]
	v_fma_f64 v[108:109], v[156:157], -0.5, v[124:125]
	v_add_f64 v[132:133], v[20:21], -v[30:31]
	v_add_f64 v[78:79], v[112:113], v[114:115]
	v_fma_f64 v[100:101], v[148:149], -0.5, v[122:123]
	v_fma_f64 v[112:113], v[162:163], -0.5, v[124:125]
	v_add_f64 v[10:11], v[18:19], v[10:11]
	v_fma_f64 v[18:19], v[52:53], s[12:13], v[50:51]
	v_add_f64 v[4:5], v[8:9], v[4:5]
	v_fma_f64 v[8:9], v[70:71], s[14:15], v[62:63]
	v_fma_f64 v[50:51], v[52:53], s[14:15], v[50:51]
	;; [unrolled: 1-line block ×7, first 2 shown]
	v_add_f64 v[14:15], v[16:17], v[14:15]
	v_fma_f64 v[16:17], v[102:103], s[12:13], v[26:27]
	v_add_f64 v[12:13], v[12:13], v[30:31]
	v_fma_f64 v[30:31], v[28:29], s[14:15], v[92:93]
	v_fma_f64 v[124:125], v[104:105], s[14:15], v[90:91]
	;; [unrolled: 1-line block ×7, first 2 shown]
	v_add_f64 v[146:147], v[42:43], -v[46:47]
	v_add_f64 v[152:153], v[46:47], -v[42:43]
	;; [unrolled: 1-line block ×4, first 2 shown]
	v_add_f64 v[24:25], v[24:25], v[46:47]
	v_fma_f64 v[46:47], v[34:35], s[12:13], v[48:49]
	v_add_f64 v[40:41], v[44:45], v[40:41]
	v_fma_f64 v[44:45], v[22:23], s[14:15], v[108:109]
	;; [unrolled: 2-line block ×3, first 2 shown]
	v_fma_f64 v[132:133], v[170:171], s[12:13], v[112:113]
	v_fma_f64 v[100:101], v[168:169], s[12:13], v[100:101]
	;; [unrolled: 1-line block ×6, first 2 shown]
	v_add_f64 v[2:3], v[4:5], v[60:61]
	v_fma_f64 v[60:61], v[82:83], s[10:11], v[8:9]
	v_fma_f64 v[50:51], v[54:55], s[10:11], v[50:51]
	;; [unrolled: 1-line block ×7, first 2 shown]
	v_add_f64 v[4:5], v[14:15], v[32:33]
	v_fma_f64 v[32:33], v[104:105], s[6:7], v[16:17]
	v_fma_f64 v[30:31], v[138:139], s[10:11], v[30:31]
	;; [unrolled: 1-line block ×8, first 2 shown]
	v_add_f64 v[98:99], v[144:145], v[146:147]
	v_add_f64 v[110:111], v[158:159], v[160:161]
	v_fma_f64 v[46:47], v[168:169], s[6:7], v[46:47]
	v_fma_f64 v[120:121], v[170:171], s[10:11], v[44:45]
	v_add_f64 v[106:107], v[150:151], v[152:153]
	v_add_f64 v[114:115], v[164:165], v[166:167]
	v_fma_f64 v[118:119], v[34:35], s[6:7], v[130:131]
	v_fma_f64 v[122:123], v[22:23], s[10:11], v[132:133]
	;; [unrolled: 1-line block ×6, first 2 shown]
	v_add_f64 v[0:1], v[10:11], v[6:7]
	v_add_f64 v[6:7], v[12:13], v[20:21]
	v_fma_f64 v[12:13], v[38:39], s[4:5], v[18:19]
	v_fma_f64 v[14:15], v[58:59], s[4:5], v[60:61]
	;; [unrolled: 1-line block ×4, first 2 shown]
	v_add_f64 v[8:9], v[24:25], v[42:43]
	v_fma_f64 v[24:25], v[56:57], s[4:5], v[52:53]
	v_fma_f64 v[26:27], v[72:73], s[4:5], v[70:71]
	v_fma_f64 v[16:17], v[38:39], s[4:5], v[50:51]
	v_fma_f64 v[18:19], v[58:59], s[4:5], v[62:63]
	v_fma_f64 v[28:29], v[76:77], s[4:5], v[32:33]
	v_fma_f64 v[30:31], v[80:81], s[4:5], v[30:31]
	v_add_f64 v[10:11], v[40:41], v[36:37]
	v_fma_f64 v[36:37], v[78:79], s[4:5], v[116:117]
	v_fma_f64 v[38:39], v[96:97], s[4:5], v[102:103]
	;; [unrolled: 1-line block ×14, first 2 shown]
	v_add3_u32 v60, 0, v85, v174
	v_lshlrev_b32_sdwa v61, v75, v69 dst_sel:DWORD dst_unused:UNUSED_PAD src0_sel:DWORD src1_sel:BYTE_0
	v_add3_u32 v62, 0, v172, v175
	v_add3_u32 v61, 0, v173, v61
	ds_write_b128 v60, v[0:3]
	ds_write_b128 v60, v[12:15] offset:176
	ds_write_b128 v60, v[20:23] offset:352
	ds_write_b128 v60, v[24:27] offset:528
	ds_write_b128 v60, v[16:19] offset:704
	ds_write_b128 v62, v[4:7]
	ds_write_b128 v62, v[28:31] offset:176
	ds_write_b128 v62, v[36:39] offset:352
	ds_write_b128 v62, v[40:43] offset:528
	ds_write_b128 v62, v[32:35] offset:704
	;; [unrolled: 5-line block ×3, first 2 shown]
	v_and_b32_e32 v44, 0xff, v64
	s_waitcnt lgkmcnt(0)
	s_barrier
	buffer_gl0_inv
	s_clause 0x3
	global_load_dwordx4 v[12:15], v[126:127], off offset:704
	global_load_dwordx4 v[8:11], v[126:127], off offset:720
	;; [unrolled: 1-line block ×4, first 2 shown]
	v_lshlrev_b32_e32 v16, 6, v44
	s_clause 0x3
	global_load_dwordx4 v[28:31], v16, s[8:9] offset:704
	global_load_dwordx4 v[24:27], v16, s[8:9] offset:720
	;; [unrolled: 1-line block ×4, first 2 shown]
	v_lshlrev_b32_e32 v64, 1, v84
	v_lshlrev_b32_e32 v32, 1, v89
	v_mov_b32_e32 v33, v65
	v_lshlrev_b32_e32 v34, 1, v68
	v_mov_b32_e32 v35, v65
	v_lshlrev_b64 v[38:39], 4, v[64:65]
	v_mov_b32_e32 v37, v65
	v_add_nc_u32_e32 v36, 0x14a, v64
	v_lshlrev_b64 v[32:33], 4, v[32:33]
	v_lshlrev_b64 v[34:35], 4, v[34:35]
	v_add_nc_u32_e32 v64, 0x1b8, v64
	ds_read_b128 v[49:52], v66 offset:2640
	ds_read_b128 v[53:56], v88 offset:5280
	v_lshlrev_b64 v[45:46], 4, v[36:37]
	v_add_co_u32 v36, s0, s8, v38
	v_add_co_ci_u32_e64 v37, s0, s9, v39, s0
	v_add_co_u32 v38, s0, s8, v32
	v_add_co_ci_u32_e64 v39, s0, s9, v33, s0
	v_add_co_u32 v47, s0, s8, v34
	v_add_co_ci_u32_e64 v48, s0, s9, v35, s0
	v_add_co_u32 v32, s0, 0x1080, v36
	v_add_co_ci_u32_e64 v33, s0, 0, v37, s0
	v_add_co_u32 v42, s0, 0x1000, v36
	v_add_co_ci_u32_e64 v43, s0, 0, v37, s0
	v_add_co_u32 v34, s0, 0x1080, v38
	v_add_co_ci_u32_e64 v35, s0, 0, v39, s0
	v_add_co_u32 v40, s0, 0x1000, v38
	v_add_co_ci_u32_e64 v41, s0, 0, v39, s0
	v_add_co_u32 v36, s0, 0x1080, v47
	v_add_co_ci_u32_e64 v37, s0, 0, v48, s0
	v_lshlrev_b64 v[76:77], 4, v[64:65]
	v_add_co_u32 v38, s0, 0x1000, v47
	ds_read_b128 v[57:60], v88 offset:7920
	ds_read_b128 v[61:64], v88 offset:10560
	;; [unrolled: 1-line block ×4, first 2 shown]
	v_add_co_ci_u32_e64 v39, s0, 0, v48, s0
	v_add_co_u32 v47, s0, s8, v45
	v_add_co_ci_u32_e64 v48, s0, s9, v46, s0
	v_add_co_u32 v45, s0, s8, v76
	v_add_co_ci_u32_e64 v46, s0, s9, v77, s0
	ds_read_b128 v[76:79], v88 offset:8800
	ds_read_b128 v[80:83], v88 offset:11440
	;; [unrolled: 1-line block ×6, first 2 shown]
	ds_read_b128 v[105:108], v88
	ds_read_b128 v[109:112], v66 offset:1760
	v_lshl_add_u32 v44, v44, 4, 0
	s_waitcnt vmcnt(7) lgkmcnt(13)
	v_mul_f64 v[113:114], v[51:52], v[14:15]
	v_mul_f64 v[115:116], v[49:50], v[14:15]
	s_waitcnt vmcnt(6) lgkmcnt(12)
	v_mul_f64 v[117:118], v[55:56], v[10:11]
	v_mul_f64 v[119:120], v[53:54], v[10:11]
	s_waitcnt vmcnt(5) lgkmcnt(11)
	v_mul_f64 v[121:122], v[59:60], v[2:3]
	v_mul_f64 v[123:124], v[57:58], v[2:3]
	s_waitcnt vmcnt(4) lgkmcnt(10)
	v_mul_f64 v[125:126], v[63:64], v[6:7]
	v_mul_f64 v[127:128], v[61:62], v[6:7]
	s_waitcnt lgkmcnt(9)
	v_mul_f64 v[129:130], v[70:71], v[14:15]
	v_mul_f64 v[14:15], v[68:69], v[14:15]
	s_waitcnt lgkmcnt(8)
	v_mul_f64 v[131:132], v[74:75], v[10:11]
	v_mul_f64 v[10:11], v[72:73], v[10:11]
	;; [unrolled: 3-line block ×4, first 2 shown]
	s_waitcnt vmcnt(3) lgkmcnt(5)
	v_mul_f64 v[137:138], v[91:92], v[30:31]
	v_mul_f64 v[30:31], v[89:90], v[30:31]
	s_waitcnt vmcnt(2) lgkmcnt(4)
	v_mul_f64 v[139:140], v[95:96], v[26:27]
	v_mul_f64 v[26:27], v[93:94], v[26:27]
	;; [unrolled: 3-line block ×4, first 2 shown]
	v_fma_f64 v[113:114], v[49:50], v[12:13], -v[113:114]
	v_fma_f64 v[115:116], v[51:52], v[12:13], v[115:116]
	v_fma_f64 v[53:54], v[53:54], v[8:9], -v[117:118]
	v_fma_f64 v[55:56], v[55:56], v[8:9], v[119:120]
	;; [unrolled: 2-line block ×3, first 2 shown]
	v_fma_f64 v[63:64], v[63:64], v[4:5], v[127:128]
	v_fma_f64 v[61:62], v[61:62], v[4:5], -v[125:126]
	v_fma_f64 v[68:69], v[68:69], v[12:13], -v[129:130]
	v_fma_f64 v[12:13], v[70:71], v[12:13], v[14:15]
	v_fma_f64 v[14:15], v[72:73], v[8:9], -v[131:132]
	v_fma_f64 v[8:9], v[74:75], v[8:9], v[10:11]
	;; [unrolled: 2-line block ×4, first 2 shown]
	ds_read_b128 v[49:52], v67
	v_fma_f64 v[2:3], v[89:90], v[28:29], -v[137:138]
	v_fma_f64 v[4:5], v[91:92], v[28:29], v[30:31]
	v_fma_f64 v[28:29], v[93:94], v[24:25], -v[139:140]
	v_fma_f64 v[24:25], v[95:96], v[24:25], v[26:27]
	;; [unrolled: 2-line block ×4, first 2 shown]
	s_waitcnt lgkmcnt(2)
	v_add_f64 v[18:19], v[105:106], v[113:114]
	v_add_f64 v[30:31], v[53:54], v[57:58]
	;; [unrolled: 1-line block ×6, first 2 shown]
	v_add_f64 v[72:73], v[115:116], -v[63:64]
	v_add_f64 v[97:98], v[115:116], -v[55:56]
	;; [unrolled: 1-line block ×3, first 2 shown]
	v_add_f64 v[115:116], v[14:15], v[10:11]
	v_add_f64 v[119:120], v[8:9], v[0:1]
	s_waitcnt lgkmcnt(0)
	v_add_f64 v[123:124], v[49:50], v[68:69]
	v_add_f64 v[117:118], v[68:69], v[70:71]
	;; [unrolled: 1-line block ×3, first 2 shown]
	v_add_f64 v[76:77], v[113:114], -v[53:54]
	v_add_f64 v[78:79], v[61:62], -v[57:58]
	;; [unrolled: 1-line block ×6, first 2 shown]
	v_add_f64 v[143:144], v[109:110], v[2:3]
	v_add_f64 v[145:146], v[28:29], v[26:27]
	;; [unrolled: 1-line block ×7, first 2 shown]
	v_add_f64 v[74:75], v[55:56], -v[59:60]
	v_add_f64 v[147:148], v[2:3], -v[28:29]
	v_add_f64 v[153:154], v[28:29], -v[2:3]
	v_add_f64 v[181:182], v[2:3], -v[22:23]
	v_fma_f64 v[2:3], v[30:31], -0.5, v[105:106]
	v_fma_f64 v[30:31], v[93:94], -0.5, v[107:108]
	v_add_f64 v[18:19], v[18:19], v[53:54]
	v_add_f64 v[55:56], v[91:92], v[55:56]
	v_add_f64 v[161:162], v[4:5], -v[24:25]
	v_add_f64 v[167:168], v[24:25], -v[4:5]
	v_add_f64 v[171:172], v[53:54], -v[57:58]
	v_add_f64 v[177:178], v[4:5], -v[16:17]
	v_fma_f64 v[4:5], v[80:81], -0.5, v[105:106]
	v_fma_f64 v[80:81], v[101:102], -0.5, v[107:108]
	v_add_f64 v[125:126], v[68:69], -v[14:15]
	v_add_f64 v[127:128], v[70:71], -v[10:11]
	;; [unrolled: 1-line block ×8, first 2 shown]
	v_fma_f64 v[93:94], v[115:116], -0.5, v[49:50]
	v_fma_f64 v[101:102], v[119:120], -0.5, v[51:52]
	v_add_f64 v[14:15], v[123:124], v[14:15]
	v_add_f64 v[173:174], v[8:9], -v[0:1]
	v_fma_f64 v[49:50], v[117:118], -0.5, v[49:50]
	v_fma_f64 v[51:52], v[121:122], -0.5, v[51:52]
	v_add_f64 v[179:180], v[24:25], -v[20:21]
	v_add_f64 v[183:184], v[28:29], -v[26:27]
	v_add_f64 v[53:54], v[76:77], v[78:79]
	v_add_f64 v[76:77], v[82:83], v[89:90]
	;; [unrolled: 1-line block ×4, first 2 shown]
	v_fma_f64 v[103:104], v[145:146], -0.5, v[109:110]
	v_add_f64 v[24:25], v[157:158], v[24:25]
	v_fma_f64 v[113:114], v[159:160], -0.5, v[111:112]
	v_add_f64 v[131:132], v[10:11], -v[70:71]
	v_fma_f64 v[107:108], v[151:152], -0.5, v[109:110]
	v_fma_f64 v[111:112], v[165:166], -0.5, v[111:112]
	v_add_f64 v[8:9], v[133:134], v[8:9]
	v_add_f64 v[99:100], v[63:64], -v[59:60]
	v_add_f64 v[18:19], v[18:19], v[57:58]
	v_fma_f64 v[57:58], v[72:73], s[12:13], v[2:3]
	v_fma_f64 v[2:3], v[72:73], s[14:15], v[2:3]
	v_add_f64 v[55:56], v[55:56], v[59:60]
	v_fma_f64 v[59:60], v[95:96], s[14:15], v[30:31]
	v_fma_f64 v[119:120], v[74:75], s[14:15], v[4:5]
	;; [unrolled: 1-line block ×6, first 2 shown]
	v_add_f64 v[137:138], v[6:7], -v[0:1]
	v_add_f64 v[89:90], v[125:126], v[127:128]
	v_add_f64 v[10:11], v[14:15], v[10:11]
	v_fma_f64 v[14:15], v[12:13], s[12:13], v[93:94]
	v_fma_f64 v[125:126], v[68:69], s[14:15], v[101:102]
	v_add_f64 v[141:142], v[0:1], -v[6:7]
	v_fma_f64 v[123:124], v[173:174], s[14:15], v[49:50]
	v_fma_f64 v[127:128], v[175:176], s[12:13], v[51:52]
	;; [unrolled: 1-line block ×6, first 2 shown]
	v_add_f64 v[149:150], v[22:23], -v[26:27]
	v_add_f64 v[155:156], v[26:27], -v[22:23]
	;; [unrolled: 1-line block ×4, first 2 shown]
	v_add_f64 v[26:27], v[28:29], v[26:27]
	v_fma_f64 v[28:29], v[177:178], s[12:13], v[103:104]
	v_add_f64 v[20:21], v[24:25], v[20:21]
	v_fma_f64 v[24:25], v[181:182], s[14:15], v[113:114]
	;; [unrolled: 2-line block ×3, first 2 shown]
	v_fma_f64 v[131:132], v[183:184], s[12:13], v[111:112]
	v_fma_f64 v[107:108], v[179:180], s[12:13], v[107:108]
	;; [unrolled: 1-line block ×5, first 2 shown]
	v_add_f64 v[8:9], v[8:9], v[0:1]
	v_add_f64 v[78:79], v[97:98], v[99:100]
	;; [unrolled: 1-line block ×3, first 2 shown]
	v_fma_f64 v[18:19], v[74:75], s[6:7], v[57:58]
	v_fma_f64 v[57:58], v[74:75], s[10:11], v[2:3]
	v_add_f64 v[2:3], v[55:56], v[63:64]
	v_fma_f64 v[55:56], v[171:172], s[10:11], v[59:60]
	v_fma_f64 v[61:62], v[72:73], s[6:7], v[119:120]
	;; [unrolled: 1-line block ×6, first 2 shown]
	v_add_f64 v[97:98], v[135:136], v[137:138]
	v_add_f64 v[4:5], v[10:11], v[70:71]
	v_fma_f64 v[70:71], v[173:174], s[6:7], v[14:15]
	v_fma_f64 v[95:96], v[175:176], s[10:11], v[125:126]
	v_add_f64 v[99:100], v[139:140], v[141:142]
	v_fma_f64 v[80:81], v[12:13], s[6:7], v[123:124]
	v_fma_f64 v[119:120], v[68:69], s[10:11], v[127:128]
	;; [unrolled: 1-line block ×6, first 2 shown]
	v_add_f64 v[105:106], v[147:148], v[149:150]
	v_add_f64 v[115:116], v[161:162], v[163:164]
	v_fma_f64 v[121:122], v[179:180], s[6:7], v[28:29]
	v_fma_f64 v[125:126], v[183:184], s[10:11], v[24:25]
	v_add_f64 v[109:110], v[153:154], v[155:156]
	v_add_f64 v[117:118], v[167:168], v[169:170]
	v_fma_f64 v[123:124], v[177:178], s[6:7], v[129:130]
	v_fma_f64 v[127:128], v[181:182], s[10:11], v[131:132]
	;; [unrolled: 1-line block ×6, first 2 shown]
	v_add_f64 v[6:7], v[8:9], v[6:7]
	v_add_f64 v[8:9], v[26:27], v[22:23]
	;; [unrolled: 1-line block ×3, first 2 shown]
	v_fma_f64 v[12:13], v[53:54], s[4:5], v[18:19]
	v_fma_f64 v[14:15], v[78:79], s[4:5], v[55:56]
	;; [unrolled: 1-line block ×24, first 2 shown]
	v_add_co_u32 v80, s0, 0x1080, v47
	v_add_co_ci_u32_e64 v81, s0, 0, v48, s0
	s_barrier
	buffer_gl0_inv
	ds_write_b128 v88, v[0:3]
	ds_write_b128 v88, v[4:7] offset:4400
	ds_write_b128 v44, v[8:11] offset:8800
	ds_write_b128 v88, v[12:15] offset:880
	ds_write_b128 v88, v[20:23] offset:1760
	ds_write_b128 v88, v[24:27] offset:2640
	ds_write_b128 v88, v[16:19] offset:3520
	ds_write_b128 v88, v[28:31] offset:5280
	ds_write_b128 v88, v[53:56] offset:6160
	ds_write_b128 v88, v[57:60] offset:7040
	ds_write_b128 v88, v[49:52] offset:7920
	ds_write_b128 v44, v[61:64] offset:9680
	ds_write_b128 v44, v[72:75] offset:10560
	ds_write_b128 v44, v[76:79] offset:11440
	ds_write_b128 v44, v[68:71] offset:12320
	s_waitcnt lgkmcnt(0)
	s_barrier
	buffer_gl0_inv
	global_load_dwordx4 v[0:3], v[42:43], off offset:128
	v_add_co_u32 v24, s0, 0x1000, v47
	s_clause 0x1
	global_load_dwordx4 v[4:7], v[32:33], off offset:16
	global_load_dwordx4 v[8:11], v[40:41], off offset:128
	v_add_co_ci_u32_e64 v25, s0, 0, v48, s0
	v_add_co_u32 v32, s0, 0x1000, v45
	v_add_co_ci_u32_e64 v33, s0, 0, v46, s0
	s_clause 0x3
	global_load_dwordx4 v[12:15], v[34:35], off offset:16
	global_load_dwordx4 v[16:19], v[38:39], off offset:128
	;; [unrolled: 1-line block ×4, first 2 shown]
	v_add_co_u32 v36, s0, 0x1080, v45
	v_add_co_ci_u32_e64 v37, s0, 0, v46, s0
	s_clause 0x2
	global_load_dwordx4 v[28:31], v[80:81], off offset:16
	global_load_dwordx4 v[32:35], v[32:33], off offset:128
	global_load_dwordx4 v[36:39], v[36:37], off offset:16
	ds_read_b128 v[40:43], v88 offset:4400
	ds_read_b128 v[44:47], v88 offset:8800
	;; [unrolled: 1-line block ×10, first 2 shown]
	ds_read_b128 v[89:92], v88
	ds_read_b128 v[93:96], v67
	s_mov_b32 s0, 0xe8584caa
	s_mov_b32 s1, 0x3febb67a
	s_mov_b32 s5, 0xbfebb67a
	s_mov_b32 s4, s0
	s_waitcnt vmcnt(9) lgkmcnt(11)
	v_mul_f64 v[97:98], v[42:43], v[2:3]
	v_mul_f64 v[2:3], v[40:41], v[2:3]
	s_waitcnt vmcnt(8) lgkmcnt(10)
	v_mul_f64 v[99:100], v[46:47], v[6:7]
	v_mul_f64 v[6:7], v[44:45], v[6:7]
	;; [unrolled: 3-line block ×10, first 2 shown]
	v_fma_f64 v[40:41], v[40:41], v[0:1], -v[97:98]
	v_fma_f64 v[42:43], v[42:43], v[0:1], v[2:3]
	v_fma_f64 v[44:45], v[44:45], v[4:5], -v[99:100]
	v_fma_f64 v[46:47], v[46:47], v[4:5], v[6:7]
	;; [unrolled: 2-line block ×3, first 2 shown]
	ds_read_b128 v[0:3], v66 offset:1760
	ds_read_b128 v[4:7], v66 offset:2640
	v_fma_f64 v[52:53], v[52:53], v[12:13], -v[103:104]
	v_fma_f64 v[54:55], v[54:55], v[12:13], v[14:15]
	v_fma_f64 v[12:13], v[56:57], v[16:17], -v[105:106]
	v_fma_f64 v[14:15], v[58:59], v[16:17], v[18:19]
	v_fma_f64 v[16:17], v[60:61], v[20:21], -v[107:108]
	v_fma_f64 v[18:19], v[62:63], v[20:21], v[22:23]
	v_fma_f64 v[20:21], v[68:69], v[24:25], -v[109:110]
	v_fma_f64 v[22:23], v[70:71], v[24:25], v[26:27]
	v_fma_f64 v[24:25], v[72:73], v[28:29], -v[111:112]
	v_fma_f64 v[26:27], v[74:75], v[28:29], v[30:31]
	v_fma_f64 v[28:29], v[76:77], v[32:33], -v[113:114]
	v_fma_f64 v[30:31], v[78:79], v[32:33], v[34:35]
	v_fma_f64 v[32:33], v[80:81], v[36:37], -v[115:116]
	v_fma_f64 v[34:35], v[82:83], v[36:37], v[38:39]
	ds_read_b128 v[8:11], v88 offset:3520
	s_waitcnt lgkmcnt(4)
	v_add_f64 v[36:37], v[89:90], v[40:41]
	v_add_f64 v[58:59], v[91:92], v[42:43]
	v_add_f64 v[38:39], v[40:41], v[44:45]
	v_add_f64 v[56:57], v[42:43], -v[46:47]
	v_add_f64 v[42:43], v[42:43], v[46:47]
	s_waitcnt lgkmcnt(3)
	v_add_f64 v[70:71], v[95:96], v[50:51]
	v_add_f64 v[60:61], v[93:94], v[48:49]
	;; [unrolled: 1-line block ×3, first 2 shown]
	v_add_f64 v[68:69], v[50:51], -v[54:55]
	v_add_f64 v[50:51], v[50:51], v[54:55]
	v_add_f64 v[40:41], v[40:41], -v[44:45]
	v_add_f64 v[74:75], v[12:13], v[16:17]
	v_add_f64 v[80:81], v[14:15], v[18:19]
	s_waitcnt lgkmcnt(2)
	v_add_f64 v[72:73], v[0:1], v[12:13]
	s_waitcnt lgkmcnt(1)
	v_add_f64 v[99:100], v[4:5], v[20:21]
	v_add_f64 v[97:98], v[20:21], v[24:25]
	;; [unrolled: 1-line block ×3, first 2 shown]
	v_add_f64 v[103:104], v[22:23], -v[26:27]
	v_add_f64 v[22:23], v[6:7], v[22:23]
	v_add_f64 v[105:106], v[28:29], v[32:33]
	;; [unrolled: 1-line block ×3, first 2 shown]
	v_add_f64 v[109:110], v[20:21], -v[24:25]
	s_waitcnt lgkmcnt(0)
	v_add_f64 v[20:21], v[8:9], v[28:29]
	v_add_f64 v[111:112], v[10:11], v[30:31]
	v_fma_f64 v[38:39], v[38:39], -0.5, v[89:90]
	v_add_f64 v[89:90], v[30:31], -v[34:35]
	v_fma_f64 v[30:31], v[42:43], -0.5, v[91:92]
	v_add_f64 v[48:49], v[48:49], -v[52:53]
	v_add_f64 v[82:83], v[12:13], -v[16:17]
	v_fma_f64 v[42:43], v[62:63], -0.5, v[93:94]
	v_add_f64 v[12:13], v[36:37], v[44:45]
	v_fma_f64 v[36:37], v[50:51], -0.5, v[95:96]
	v_add_f64 v[78:79], v[2:3], v[14:15]
	v_add_f64 v[76:77], v[14:15], -v[18:19]
	v_add_f64 v[14:15], v[58:59], v[46:47]
	v_fma_f64 v[44:45], v[74:75], -0.5, v[0:1]
	v_fma_f64 v[46:47], v[80:81], -0.5, v[2:3]
	v_add_f64 v[0:1], v[60:61], v[52:53]
	v_fma_f64 v[50:51], v[97:98], -0.5, v[4:5]
	v_fma_f64 v[52:53], v[101:102], -0.5, v[6:7]
	v_add_f64 v[91:92], v[28:29], -v[32:33]
	v_add_f64 v[2:3], v[70:71], v[54:55]
	v_fma_f64 v[54:55], v[105:106], -0.5, v[8:9]
	v_fma_f64 v[58:59], v[107:108], -0.5, v[10:11]
	v_add_f64 v[4:5], v[72:73], v[16:17]
	v_add_f64 v[10:11], v[22:23], v[26:27]
	;; [unrolled: 1-line block ×3, first 2 shown]
	v_fma_f64 v[20:21], v[56:57], s[0:1], v[38:39]
	v_fma_f64 v[22:23], v[40:41], s[4:5], v[30:31]
	v_add_f64 v[8:9], v[99:100], v[24:25]
	v_fma_f64 v[24:25], v[56:57], s[4:5], v[38:39]
	v_fma_f64 v[26:27], v[40:41], s[0:1], v[30:31]
	;; [unrolled: 1-line block ×4, first 2 shown]
	v_add_f64 v[6:7], v[78:79], v[18:19]
	v_add_f64 v[18:19], v[111:112], v[34:35]
	v_fma_f64 v[32:33], v[68:69], s[4:5], v[42:43]
	v_fma_f64 v[34:35], v[48:49], s[0:1], v[36:37]
	;; [unrolled: 1-line block ×14, first 2 shown]
	s_barrier
	buffer_gl0_inv
	ds_write_b128 v88, v[12:15]
	ds_write_b128 v88, v[20:23] offset:4400
	ds_write_b128 v88, v[24:27] offset:8800
	ds_write_b128 v67, v[0:3]
	ds_write_b128 v67, v[28:31] offset:4400
	ds_write_b128 v67, v[32:35] offset:8800
	ds_write_b128 v66, v[4:7] offset:1760
	ds_write_b128 v66, v[36:39] offset:6160
	ds_write_b128 v66, v[40:43] offset:10560
	ds_write_b128 v66, v[8:11] offset:2640
	ds_write_b128 v66, v[44:47] offset:7040
	ds_write_b128 v66, v[48:51] offset:11440
	ds_write_b128 v88, v[16:19] offset:3520
	ds_write_b128 v88, v[52:55] offset:7920
	ds_write_b128 v88, v[56:59] offset:12320
	s_waitcnt lgkmcnt(0)
	s_barrier
	buffer_gl0_inv
	s_and_saveexec_b32 s0, vcc_lo
	s_cbranch_execz .LBB0_17
; %bb.16:
	v_mov_b32_e32 v85, v65
	ds_read_b128 v[0:3], v88
	v_add_co_u32 v18, vcc_lo, s2, v86
	v_add_co_ci_u32_e32 v19, vcc_lo, s3, v87, vcc_lo
	v_lshlrev_b64 v[16:17], 4, v[84:85]
	ds_read_b128 v[4:7], v88 offset:880
	ds_read_b128 v[8:11], v88 offset:1760
	;; [unrolled: 1-line block ×3, first 2 shown]
	v_add_co_u32 v36, vcc_lo, v18, v16
	v_add_co_ci_u32_e32 v37, vcc_lo, v19, v17, vcc_lo
	ds_read_b128 v[16:19], v88 offset:3520
	ds_read_b128 v[20:23], v88 offset:4400
	;; [unrolled: 1-line block ×3, first 2 shown]
	v_add_co_u32 v38, vcc_lo, 0x800, v36
	v_add_co_ci_u32_e32 v39, vcc_lo, 0, v37, vcc_lo
	s_waitcnt lgkmcnt(6)
	global_store_dwordx4 v[36:37], v[0:3], off
	ds_read_b128 v[0:3], v88 offset:6160
	ds_read_b128 v[28:31], v88 offset:7040
	;; [unrolled: 1-line block ×3, first 2 shown]
	v_add_co_u32 v40, vcc_lo, 0x1000, v36
	v_add_co_ci_u32_e32 v41, vcc_lo, 0, v37, vcc_lo
	s_waitcnt lgkmcnt(8)
	global_store_dwordx4 v[36:37], v[4:7], off offset:880
	s_waitcnt lgkmcnt(7)
	global_store_dwordx4 v[36:37], v[8:11], off offset:1760
	;; [unrolled: 2-line block ×6, first 2 shown]
	ds_read_b128 v[4:7], v88 offset:8800
	ds_read_b128 v[8:11], v88 offset:9680
	;; [unrolled: 1-line block ×5, first 2 shown]
	v_add_co_u32 v24, vcc_lo, 0x1800, v36
	v_add_co_ci_u32_e32 v25, vcc_lo, 0, v37, vcc_lo
	s_waitcnt lgkmcnt(7)
	global_store_dwordx4 v[24:25], v[0:3], off offset:16
	s_waitcnt lgkmcnt(6)
	global_store_dwordx4 v[24:25], v[28:31], off offset:896
	;; [unrolled: 2-line block ×3, first 2 shown]
	v_add_co_u32 v0, vcc_lo, 0x2000, v36
	v_add_co_ci_u32_e32 v1, vcc_lo, 0, v37, vcc_lo
	v_add_co_u32 v2, vcc_lo, 0x2800, v36
	v_add_co_ci_u32_e32 v3, vcc_lo, 0, v37, vcc_lo
	;; [unrolled: 2-line block ×3, first 2 shown]
	s_waitcnt lgkmcnt(4)
	global_store_dwordx4 v[0:1], v[4:7], off offset:608
	s_waitcnt lgkmcnt(3)
	global_store_dwordx4 v[0:1], v[8:11], off offset:1488
	;; [unrolled: 2-line block ×5, first 2 shown]
.LBB0_17:
	s_endpgm
	.section	.rodata,"a",@progbits
	.p2align	6, 0x0
	.amdhsa_kernel fft_rtc_fwd_len825_factors_11_5_5_3_wgs_55_tpt_55_dp_ip_CI_unitstride_sbrr_dirReg
		.amdhsa_group_segment_fixed_size 0
		.amdhsa_private_segment_fixed_size 0
		.amdhsa_kernarg_size 88
		.amdhsa_user_sgpr_count 6
		.amdhsa_user_sgpr_private_segment_buffer 1
		.amdhsa_user_sgpr_dispatch_ptr 0
		.amdhsa_user_sgpr_queue_ptr 0
		.amdhsa_user_sgpr_kernarg_segment_ptr 1
		.amdhsa_user_sgpr_dispatch_id 0
		.amdhsa_user_sgpr_flat_scratch_init 0
		.amdhsa_user_sgpr_private_segment_size 0
		.amdhsa_wavefront_size32 1
		.amdhsa_uses_dynamic_stack 0
		.amdhsa_system_sgpr_private_segment_wavefront_offset 0
		.amdhsa_system_sgpr_workgroup_id_x 1
		.amdhsa_system_sgpr_workgroup_id_y 0
		.amdhsa_system_sgpr_workgroup_id_z 0
		.amdhsa_system_sgpr_workgroup_info 0
		.amdhsa_system_vgpr_workitem_id 0
		.amdhsa_next_free_vgpr 185
		.amdhsa_next_free_sgpr 36
		.amdhsa_reserve_vcc 1
		.amdhsa_reserve_flat_scratch 0
		.amdhsa_float_round_mode_32 0
		.amdhsa_float_round_mode_16_64 0
		.amdhsa_float_denorm_mode_32 3
		.amdhsa_float_denorm_mode_16_64 3
		.amdhsa_dx10_clamp 1
		.amdhsa_ieee_mode 1
		.amdhsa_fp16_overflow 0
		.amdhsa_workgroup_processor_mode 1
		.amdhsa_memory_ordered 1
		.amdhsa_forward_progress 0
		.amdhsa_shared_vgpr_count 0
		.amdhsa_exception_fp_ieee_invalid_op 0
		.amdhsa_exception_fp_denorm_src 0
		.amdhsa_exception_fp_ieee_div_zero 0
		.amdhsa_exception_fp_ieee_overflow 0
		.amdhsa_exception_fp_ieee_underflow 0
		.amdhsa_exception_fp_ieee_inexact 0
		.amdhsa_exception_int_div_zero 0
	.end_amdhsa_kernel
	.text
.Lfunc_end0:
	.size	fft_rtc_fwd_len825_factors_11_5_5_3_wgs_55_tpt_55_dp_ip_CI_unitstride_sbrr_dirReg, .Lfunc_end0-fft_rtc_fwd_len825_factors_11_5_5_3_wgs_55_tpt_55_dp_ip_CI_unitstride_sbrr_dirReg
                                        ; -- End function
	.section	.AMDGPU.csdata,"",@progbits
; Kernel info:
; codeLenInByte = 13892
; NumSgprs: 38
; NumVgprs: 185
; ScratchSize: 0
; MemoryBound: 0
; FloatMode: 240
; IeeeMode: 1
; LDSByteSize: 0 bytes/workgroup (compile time only)
; SGPRBlocks: 4
; VGPRBlocks: 23
; NumSGPRsForWavesPerEU: 38
; NumVGPRsForWavesPerEU: 185
; Occupancy: 5
; WaveLimiterHint : 1
; COMPUTE_PGM_RSRC2:SCRATCH_EN: 0
; COMPUTE_PGM_RSRC2:USER_SGPR: 6
; COMPUTE_PGM_RSRC2:TRAP_HANDLER: 0
; COMPUTE_PGM_RSRC2:TGID_X_EN: 1
; COMPUTE_PGM_RSRC2:TGID_Y_EN: 0
; COMPUTE_PGM_RSRC2:TGID_Z_EN: 0
; COMPUTE_PGM_RSRC2:TIDIG_COMP_CNT: 0
	.text
	.p2alignl 6, 3214868480
	.fill 48, 4, 3214868480
	.type	__hip_cuid_88412dc1e020bf50,@object ; @__hip_cuid_88412dc1e020bf50
	.section	.bss,"aw",@nobits
	.globl	__hip_cuid_88412dc1e020bf50
__hip_cuid_88412dc1e020bf50:
	.byte	0                               ; 0x0
	.size	__hip_cuid_88412dc1e020bf50, 1

	.ident	"AMD clang version 19.0.0git (https://github.com/RadeonOpenCompute/llvm-project roc-6.4.0 25133 c7fe45cf4b819c5991fe208aaa96edf142730f1d)"
	.section	".note.GNU-stack","",@progbits
	.addrsig
	.addrsig_sym __hip_cuid_88412dc1e020bf50
	.amdgpu_metadata
---
amdhsa.kernels:
  - .args:
      - .actual_access:  read_only
        .address_space:  global
        .offset:         0
        .size:           8
        .value_kind:     global_buffer
      - .offset:         8
        .size:           8
        .value_kind:     by_value
      - .actual_access:  read_only
        .address_space:  global
        .offset:         16
        .size:           8
        .value_kind:     global_buffer
      - .actual_access:  read_only
        .address_space:  global
        .offset:         24
        .size:           8
        .value_kind:     global_buffer
      - .offset:         32
        .size:           8
        .value_kind:     by_value
      - .actual_access:  read_only
        .address_space:  global
        .offset:         40
        .size:           8
        .value_kind:     global_buffer
      - .actual_access:  read_only
        .address_space:  global
        .offset:         48
        .size:           8
        .value_kind:     global_buffer
      - .offset:         56
        .size:           4
        .value_kind:     by_value
      - .actual_access:  read_only
        .address_space:  global
        .offset:         64
        .size:           8
        .value_kind:     global_buffer
      - .actual_access:  read_only
        .address_space:  global
        .offset:         72
        .size:           8
        .value_kind:     global_buffer
      - .address_space:  global
        .offset:         80
        .size:           8
        .value_kind:     global_buffer
    .group_segment_fixed_size: 0
    .kernarg_segment_align: 8
    .kernarg_segment_size: 88
    .language:       OpenCL C
    .language_version:
      - 2
      - 0
    .max_flat_workgroup_size: 55
    .name:           fft_rtc_fwd_len825_factors_11_5_5_3_wgs_55_tpt_55_dp_ip_CI_unitstride_sbrr_dirReg
    .private_segment_fixed_size: 0
    .sgpr_count:     38
    .sgpr_spill_count: 0
    .symbol:         fft_rtc_fwd_len825_factors_11_5_5_3_wgs_55_tpt_55_dp_ip_CI_unitstride_sbrr_dirReg.kd
    .uniform_work_group_size: 1
    .uses_dynamic_stack: false
    .vgpr_count:     185
    .vgpr_spill_count: 0
    .wavefront_size: 32
    .workgroup_processor_mode: 1
amdhsa.target:   amdgcn-amd-amdhsa--gfx1030
amdhsa.version:
  - 1
  - 2
...

	.end_amdgpu_metadata
